;; amdgpu-corpus repo=ROCm/rocSPARSE kind=compiled arch=gfx90a opt=O3
	.text
	.amdgcn_target "amdgcn-amd-amdhsa--gfx90a"
	.amdhsa_code_object_version 6
	.section	.text._ZN9rocsparseL29csrgeam_fill_multipass_kernelILj256ELj32EiifEEvllNS_24const_host_device_scalarIT3_EEPKT1_PKT2_PKS2_S3_S6_S9_SB_S6_PS7_PS2_21rocsparse_index_base_SE_SE_bbb,"axG",@progbits,_ZN9rocsparseL29csrgeam_fill_multipass_kernelILj256ELj32EiifEEvllNS_24const_host_device_scalarIT3_EEPKT1_PKT2_PKS2_S3_S6_S9_SB_S6_PS7_PS2_21rocsparse_index_base_SE_SE_bbb,comdat
	.globl	_ZN9rocsparseL29csrgeam_fill_multipass_kernelILj256ELj32EiifEEvllNS_24const_host_device_scalarIT3_EEPKT1_PKT2_PKS2_S3_S6_S9_SB_S6_PS7_PS2_21rocsparse_index_base_SE_SE_bbb ; -- Begin function _ZN9rocsparseL29csrgeam_fill_multipass_kernelILj256ELj32EiifEEvllNS_24const_host_device_scalarIT3_EEPKT1_PKT2_PKS2_S3_S6_S9_SB_S6_PS7_PS2_21rocsparse_index_base_SE_SE_bbb
	.p2align	8
	.type	_ZN9rocsparseL29csrgeam_fill_multipass_kernelILj256ELj32EiifEEvllNS_24const_host_device_scalarIT3_EEPKT1_PKT2_PKS2_S3_S6_S9_SB_S6_PS7_PS2_21rocsparse_index_base_SE_SE_bbb,@function
_ZN9rocsparseL29csrgeam_fill_multipass_kernelILj256ELj32EiifEEvllNS_24const_host_device_scalarIT3_EEPKT1_PKT2_PKS2_S3_S6_S9_SB_S6_PS7_PS2_21rocsparse_index_base_SE_SE_bbb: ; @_ZN9rocsparseL29csrgeam_fill_multipass_kernelILj256ELj32EiifEEvllNS_24const_host_device_scalarIT3_EEPKT1_PKT2_PKS2_S3_S6_S9_SB_S6_PS7_PS2_21rocsparse_index_base_SE_SE_bbb
; %bb.0:
	s_load_dwordx4 s[8:11], s[4:5], 0x68
	s_load_dwordx2 s[2:3], s[4:5], 0x30
	s_load_dword s7, s[4:5], 0x74
	s_load_dwordx4 s[12:15], s[4:5], 0x0
	s_load_dwordx2 s[18:19], s[4:5], 0x10
	s_waitcnt lgkmcnt(0)
	s_bitcmp1_b32 s11, 0
	s_cselect_b64 s[0:1], -1, 0
	s_bitcmp1_b32 s7, 16
	s_cselect_b64 s[16:17], -1, 0
	s_xor_b64 s[20:21], s[0:1], -1
	s_or_b64 s[20:21], s[20:21], s[16:17]
	s_and_b64 vcc, exec, s[20:21]
	s_cbranch_vccnz .LBB0_2
; %bb.1:
	s_load_dword s0, s[18:19], 0x0
	s_waitcnt lgkmcnt(0)
	v_mov_b32_e32 v12, s0
	s_branch .LBB0_3
.LBB0_2:
	v_mov_b32_e32 v1, s18
	v_cndmask_b32_e64 v12, 0, v1, s[0:1]
.LBB0_3:
	s_bitcmp1_b32 s7, 8
	s_cselect_b64 s[0:1], -1, 0
	s_xor_b64 s[18:19], s[0:1], -1
	s_or_b64 s[16:17], s[18:19], s[16:17]
	s_and_b64 vcc, exec, s[16:17]
	s_cbranch_vccnz .LBB0_5
; %bb.4:
	s_load_dword s0, s[2:3], 0x0
	s_waitcnt lgkmcnt(0)
	v_mov_b32_e32 v13, s0
	s_branch .LBB0_6
.LBB0_5:
	v_mov_b32_e32 v1, s2
	v_cndmask_b32_e64 v13, 0, v1, s[0:1]
.LBB0_6:
	s_lshl_b32 s0, s6, 3
	v_lshrrev_b32_e32 v1, 5, v0
	s_and_b32 s0, s0, 0x7fffff8
	v_or_b32_e32 v2, s0, v1
	v_mov_b32_e32 v3, 0
	v_cmp_gt_i64_e32 vcc, s[12:13], v[2:3]
	s_and_saveexec_b64 s[0:1], vcc
	s_cbranch_execz .LBB0_35
; %bb.7:
	s_load_dwordx4 s[0:3], s[4:5], 0x18
	s_load_dwordx2 s[6:7], s[4:5], 0x38
	s_load_dwordx2 s[12:13], s[4:5], 0x50
	v_lshlrev_b32_e32 v6, 2, v2
	s_waitcnt lgkmcnt(0)
	global_load_dwordx2 v[4:5], v6, s[0:1]
	global_load_dwordx2 v[2:3], v6, s[6:7]
	global_load_dword v1, v6, s[12:13]
	s_waitcnt vmcnt(2)
	v_cmp_ge_i32_e32 vcc, v4, v5
	s_and_saveexec_b64 s[0:1], vcc
	s_xor_b64 s[0:1], exec, s[0:1]
	s_or_saveexec_b64 s[0:1], s[0:1]
	v_subrev_u32_e32 v8, s8, v4
	v_mov_b32_e32 v4, s14
	s_xor_b64 exec, exec, s[0:1]
	s_cbranch_execz .LBB0_9
; %bb.8:
	v_ashrrev_i32_e32 v9, 31, v8
	v_lshlrev_b64 v[6:7], 2, v[8:9]
	v_mov_b32_e32 v4, s3
	v_add_co_u32_e32 v6, vcc, s2, v6
	v_addc_co_u32_e32 v7, vcc, v4, v7, vcc
	global_load_dword v4, v[6:7], off
	s_waitcnt vmcnt(0)
	v_subrev_u32_e32 v4, s8, v4
.LBB0_9:
	s_or_b64 exec, exec, s[0:1]
	s_load_dwordx2 s[6:7], s[4:5], 0x40
	s_waitcnt vmcnt(1)
	v_cmp_ge_i32_e32 vcc, v2, v3
	s_and_saveexec_b64 s[0:1], vcc
	s_xor_b64 s[0:1], exec, s[0:1]
	s_or_saveexec_b64 s[0:1], s[0:1]
	s_load_dwordx4 s[16:19], s[4:5], 0x58
	s_load_dwordx2 s[12:13], s[4:5], 0x48
	s_load_dwordx2 s[20:21], s[4:5], 0x28
	v_subrev_u32_e32 v10, s9, v2
	v_mov_b32_e32 v11, s14
	v_mov_b32_e32 v2, s14
	s_xor_b64 exec, exec, s[0:1]
	s_cbranch_execz .LBB0_11
; %bb.10:
	v_ashrrev_i32_e32 v11, 31, v10
	v_lshlrev_b64 v[6:7], 2, v[10:11]
	s_waitcnt lgkmcnt(0)
	v_mov_b32_e32 v2, s7
	v_add_co_u32_e32 v6, vcc, s6, v6
	v_addc_co_u32_e32 v7, vcc, v2, v7, vcc
	global_load_dword v2, v[6:7], off
	v_mov_b32_e32 v11, s14
	s_waitcnt vmcnt(0)
	v_subrev_u32_e32 v2, s9, v2
.LBB0_11:
	s_or_b64 exec, exec, s[0:1]
	v_subrev_u32_e32 v17, s9, v3
	v_mbcnt_lo_u32_b32 v3, -1, 0
	v_and_b32_e32 v6, 0xe0, v0
	s_waitcnt vmcnt(0)
	v_subrev_u32_e32 v18, s10, v1
	v_and_b32_e32 v1, 31, v0
	v_mbcnt_hi_u32_b32 v3, -1, v3
	v_or_b32_e32 v14, 0x400, v6
	v_lshlrev_b32_e32 v15, 2, v6
	v_min_i32_e32 v6, v2, v4
	v_and_b32_e32 v4, 64, v3
	v_xor_b32_e32 v7, 31, v1
	v_add_u32_e32 v4, 64, v4
	v_lshrrev_b32_e64 v19, v7, -1
	v_xor_b32_e32 v7, 16, v3
	v_cmp_lt_i32_e32 vcc, v7, v4
	v_cndmask_b32_e32 v7, v3, v7, vcc
	v_lshlrev_b32_e32 v21, 2, v7
	v_xor_b32_e32 v7, 8, v3
	v_cmp_lt_i32_e32 vcc, v7, v4
	v_cndmask_b32_e32 v7, v3, v7, vcc
	v_lshlrev_b32_e32 v22, 2, v7
	;; [unrolled: 4-line block ×4, first 2 shown]
	v_xor_b32_e32 v7, 1, v3
	v_cmp_lt_i32_e32 vcc, v7, v4
	v_cndmask_b32_e32 v3, v3, v7, vcc
	v_subrev_u32_e32 v16, s8, v5
	v_add_u32_e32 v0, v8, v1
	v_add_u32_e32 v2, v10, v1
	v_lshl_or_b32 v10, v1, 2, v15
	v_mov_b32_e32 v5, 0
	v_add_u32_e32 v20, s10, v1
	v_lshlrev_b32_e32 v25, 2, v3
	s_mov_b64 s[4:5], 0
	v_add_u32_e32 v26, v14, v1
	v_mov_b32_e32 v27, 1
	s_branch .LBB0_13
.LBB0_12:                               ;   in Loop: Header=BB0_13 Depth=1
	s_or_b64 exec, exec, s[10:11]
	ds_bpermute_b32 v1, v21, v7
	s_bcnt1_i32_b64 s0, vcc
	v_add_u32_e32 v18, s0, v18
	s_waitcnt lgkmcnt(0)
	v_min_i32_e32 v1, v1, v7
	ds_bpermute_b32 v3, v22, v1
	s_waitcnt lgkmcnt(0)
	v_min_i32_e32 v1, v3, v1
	ds_bpermute_b32 v3, v23, v1
	;; [unrolled: 3-line block ×4, first 2 shown]
	s_waitcnt lgkmcnt(0)
	v_min_i32_e32 v6, v3, v1
	v_ashrrev_i32_e32 v7, 31, v6
	v_cmp_le_i64_e32 vcc, s[14:15], v[6:7]
	s_or_b64 s[4:5], vcc, s[4:5]
	s_andn2_b64 exec, exec, s[4:5]
	s_cbranch_execz .LBB0_35
.LBB0_13:                               ; =>This Loop Header: Depth=1
                                        ;     Child Loop BB0_16 Depth 2
                                        ;     Child Loop BB0_26 Depth 2
	v_cmp_lt_i32_e32 vcc, v0, v16
	v_mov_b32_e32 v7, v11
	ds_write_b8 v26, v5
	ds_write_b32 v10, v5
	s_waitcnt lgkmcnt(0)
	s_and_saveexec_b64 s[10:11], vcc
	s_cbranch_execz .LBB0_23
; %bb.14:                               ;   in Loop: Header=BB0_13 Depth=1
	s_mov_b64 s[22:23], 0
	v_mov_b32_e32 v7, v11
	s_branch .LBB0_16
.LBB0_15:                               ;   in Loop: Header=BB0_16 Depth=2
	s_or_b64 exec, exec, s[24:25]
	s_and_b64 s[0:1], exec, s[0:1]
	s_or_b64 s[22:23], s[0:1], s[22:23]
	s_andn2_b64 exec, exec, s[22:23]
	s_cbranch_execz .LBB0_22
.LBB0_16:                               ;   Parent Loop BB0_13 Depth=1
                                        ; =>  This Inner Loop Header: Depth=2
	v_ashrrev_i32_e32 v1, 31, v0
	v_lshlrev_b64 v[8:9], 2, v[0:1]
	v_mov_b32_e32 v1, s3
	v_add_co_u32_e32 v28, vcc, s2, v8
	v_addc_co_u32_e32 v29, vcc, v1, v9, vcc
	global_load_dword v1, v[28:29], off
	s_waitcnt vmcnt(0)
	v_subrev_u32_e32 v3, s8, v1
	v_sub_u32_e32 v1, v3, v6
	v_cmp_gt_u32_e32 vcc, 32, v1
	v_cmp_lt_u32_e64 s[0:1], 31, v1
	s_and_saveexec_b64 s[24:25], s[0:1]
	s_xor_b64 s[0:1], exec, s[24:25]
	s_cbranch_execnz .LBB0_19
; %bb.17:                               ;   in Loop: Header=BB0_16 Depth=2
	s_andn2_saveexec_b64 s[24:25], s[0:1]
	s_cbranch_execnz .LBB0_20
.LBB0_18:                               ;   in Loop: Header=BB0_16 Depth=2
	s_or_b64 exec, exec, s[24:25]
	s_mov_b64 s[0:1], -1
	s_and_saveexec_b64 s[24:25], vcc
	s_cbranch_execz .LBB0_15
	s_branch .LBB0_21
.LBB0_19:                               ;   in Loop: Header=BB0_16 Depth=2
	v_min_i32_e32 v7, v3, v7
                                        ; implicit-def: $vgpr1
                                        ; implicit-def: $vgpr8_vgpr9
	s_andn2_saveexec_b64 s[24:25], s[0:1]
	s_cbranch_execz .LBB0_18
.LBB0_20:                               ;   in Loop: Header=BB0_16 Depth=2
	v_mov_b32_e32 v3, s21
	v_add_co_u32_e64 v8, s[0:1], s20, v8
	v_addc_co_u32_e64 v9, s[0:1], v3, v9, s[0:1]
	global_load_dword v3, v[8:9], off
	v_add_u32_e32 v4, v14, v1
	v_lshl_add_u32 v1, v1, 2, v15
	ds_write_b8 v4, v27
	s_waitcnt vmcnt(0)
	v_mul_f32_e32 v3, v12, v3
	ds_write_b32 v1, v3
	s_or_b64 exec, exec, s[24:25]
	s_mov_b64 s[0:1], -1
	s_and_saveexec_b64 s[24:25], vcc
	s_cbranch_execz .LBB0_15
.LBB0_21:                               ;   in Loop: Header=BB0_16 Depth=2
	v_add_u32_e32 v0, 32, v0
	v_cmp_ge_i32_e32 vcc, v0, v16
	s_orn2_b64 s[0:1], vcc, exec
	s_branch .LBB0_15
.LBB0_22:                               ;   in Loop: Header=BB0_13 Depth=1
	s_or_b64 exec, exec, s[22:23]
.LBB0_23:                               ;   in Loop: Header=BB0_13 Depth=1
	s_or_b64 exec, exec, s[10:11]
	v_cmp_lt_i32_e32 vcc, v2, v17
	s_waitcnt lgkmcnt(0)
	s_and_saveexec_b64 s[10:11], vcc
	s_cbranch_execz .LBB0_33
; %bb.24:                               ;   in Loop: Header=BB0_13 Depth=1
	s_mov_b64 s[22:23], 0
	s_branch .LBB0_26
.LBB0_25:                               ;   in Loop: Header=BB0_26 Depth=2
	s_or_b64 exec, exec, s[24:25]
	s_and_b64 s[0:1], exec, s[0:1]
	s_or_b64 s[22:23], s[0:1], s[22:23]
	s_andn2_b64 exec, exec, s[22:23]
	s_cbranch_execz .LBB0_32
.LBB0_26:                               ;   Parent Loop BB0_13 Depth=1
                                        ; =>  This Inner Loop Header: Depth=2
	v_ashrrev_i32_e32 v3, 31, v2
	v_lshlrev_b64 v[8:9], 2, v[2:3]
	v_mov_b32_e32 v1, s7
	v_add_co_u32_e32 v28, vcc, s6, v8
	v_addc_co_u32_e32 v29, vcc, v1, v9, vcc
	global_load_dword v1, v[28:29], off
	s_waitcnt vmcnt(0)
	v_subrev_u32_e32 v3, s9, v1
	v_sub_u32_e32 v1, v3, v6
	v_cmp_gt_u32_e32 vcc, 32, v1
	v_cmp_lt_u32_e64 s[0:1], 31, v1
	s_and_saveexec_b64 s[24:25], s[0:1]
	s_xor_b64 s[0:1], exec, s[24:25]
	s_cbranch_execnz .LBB0_29
; %bb.27:                               ;   in Loop: Header=BB0_26 Depth=2
	s_andn2_saveexec_b64 s[24:25], s[0:1]
	s_cbranch_execnz .LBB0_30
.LBB0_28:                               ;   in Loop: Header=BB0_26 Depth=2
	s_or_b64 exec, exec, s[24:25]
	s_mov_b64 s[0:1], -1
	s_and_saveexec_b64 s[24:25], vcc
	s_cbranch_execz .LBB0_25
	s_branch .LBB0_31
.LBB0_29:                               ;   in Loop: Header=BB0_26 Depth=2
	v_min_i32_e32 v7, v3, v7
                                        ; implicit-def: $vgpr1
                                        ; implicit-def: $vgpr8_vgpr9
	s_andn2_saveexec_b64 s[24:25], s[0:1]
	s_cbranch_execz .LBB0_28
.LBB0_30:                               ;   in Loop: Header=BB0_26 Depth=2
	v_mov_b32_e32 v3, s13
	v_add_co_u32_e64 v8, s[0:1], s12, v8
	v_addc_co_u32_e64 v9, s[0:1], v3, v9, s[0:1]
	global_load_dword v3, v[8:9], off
	v_lshl_add_u32 v4, v1, 2, v15
	ds_read_b32 v8, v4
	v_add_u32_e32 v1, v14, v1
	ds_write_b8 v1, v27
	s_waitcnt vmcnt(0) lgkmcnt(1)
	v_fmac_f32_e32 v8, v13, v3
	ds_write_b32 v4, v8
	s_or_b64 exec, exec, s[24:25]
	s_mov_b64 s[0:1], -1
	s_and_saveexec_b64 s[24:25], vcc
	s_cbranch_execz .LBB0_25
.LBB0_31:                               ;   in Loop: Header=BB0_26 Depth=2
	v_add_u32_e32 v2, 32, v2
	v_cmp_ge_i32_e32 vcc, v2, v17
	s_orn2_b64 s[0:1], vcc, exec
	s_branch .LBB0_25
.LBB0_32:                               ;   in Loop: Header=BB0_13 Depth=1
	s_or_b64 exec, exec, s[22:23]
.LBB0_33:                               ;   in Loop: Header=BB0_13 Depth=1
	s_or_b64 exec, exec, s[10:11]
	s_waitcnt lgkmcnt(0)
	ds_read_u8 v1, v26
	s_waitcnt lgkmcnt(0)
	v_and_b32_e32 v3, 1, v1
	v_cmp_eq_u32_e64 s[0:1], 1, v3
	v_cmp_ne_u16_e32 vcc, 0, v1
	s_and_saveexec_b64 s[10:11], s[0:1]
	s_cbranch_execz .LBB0_12
; %bb.34:                               ;   in Loop: Header=BB0_13 Depth=1
	v_and_b32_e32 v1, vcc_lo, v19
	v_bcnt_u32_b32 v1, v1, 0
	v_add3_u32 v4, v18, v1, -1
	v_lshlrev_b64 v[8:9], 2, v[4:5]
	v_mov_b32_e32 v1, s19
	v_add_co_u32_e64 v28, s[0:1], s18, v8
	ds_read_b32 v3, v10
	v_addc_co_u32_e64 v29, s[0:1], v1, v9, s[0:1]
	v_mov_b32_e32 v1, s17
	v_add_co_u32_e64 v8, s[0:1], s16, v8
	v_addc_co_u32_e64 v9, s[0:1], v1, v9, s[0:1]
	v_add_u32_e32 v1, v20, v6
	global_store_dword v[8:9], v1, off
	s_waitcnt lgkmcnt(0)
	global_store_dword v[28:29], v3, off
	s_branch .LBB0_12
.LBB0_35:
	s_endpgm
	.section	.rodata,"a",@progbits
	.p2align	6, 0x0
	.amdhsa_kernel _ZN9rocsparseL29csrgeam_fill_multipass_kernelILj256ELj32EiifEEvllNS_24const_host_device_scalarIT3_EEPKT1_PKT2_PKS2_S3_S6_S9_SB_S6_PS7_PS2_21rocsparse_index_base_SE_SE_bbb
		.amdhsa_group_segment_fixed_size 1280
		.amdhsa_private_segment_fixed_size 0
		.amdhsa_kernarg_size 120
		.amdhsa_user_sgpr_count 6
		.amdhsa_user_sgpr_private_segment_buffer 1
		.amdhsa_user_sgpr_dispatch_ptr 0
		.amdhsa_user_sgpr_queue_ptr 0
		.amdhsa_user_sgpr_kernarg_segment_ptr 1
		.amdhsa_user_sgpr_dispatch_id 0
		.amdhsa_user_sgpr_flat_scratch_init 0
		.amdhsa_user_sgpr_kernarg_preload_length 0
		.amdhsa_user_sgpr_kernarg_preload_offset 0
		.amdhsa_user_sgpr_private_segment_size 0
		.amdhsa_uses_dynamic_stack 0
		.amdhsa_system_sgpr_private_segment_wavefront_offset 0
		.amdhsa_system_sgpr_workgroup_id_x 1
		.amdhsa_system_sgpr_workgroup_id_y 0
		.amdhsa_system_sgpr_workgroup_id_z 0
		.amdhsa_system_sgpr_workgroup_info 0
		.amdhsa_system_vgpr_workitem_id 0
		.amdhsa_next_free_vgpr 30
		.amdhsa_next_free_sgpr 26
		.amdhsa_accum_offset 32
		.amdhsa_reserve_vcc 1
		.amdhsa_reserve_flat_scratch 0
		.amdhsa_float_round_mode_32 0
		.amdhsa_float_round_mode_16_64 0
		.amdhsa_float_denorm_mode_32 3
		.amdhsa_float_denorm_mode_16_64 3
		.amdhsa_dx10_clamp 1
		.amdhsa_ieee_mode 1
		.amdhsa_fp16_overflow 0
		.amdhsa_tg_split 0
		.amdhsa_exception_fp_ieee_invalid_op 0
		.amdhsa_exception_fp_denorm_src 0
		.amdhsa_exception_fp_ieee_div_zero 0
		.amdhsa_exception_fp_ieee_overflow 0
		.amdhsa_exception_fp_ieee_underflow 0
		.amdhsa_exception_fp_ieee_inexact 0
		.amdhsa_exception_int_div_zero 0
	.end_amdhsa_kernel
	.section	.text._ZN9rocsparseL29csrgeam_fill_multipass_kernelILj256ELj32EiifEEvllNS_24const_host_device_scalarIT3_EEPKT1_PKT2_PKS2_S3_S6_S9_SB_S6_PS7_PS2_21rocsparse_index_base_SE_SE_bbb,"axG",@progbits,_ZN9rocsparseL29csrgeam_fill_multipass_kernelILj256ELj32EiifEEvllNS_24const_host_device_scalarIT3_EEPKT1_PKT2_PKS2_S3_S6_S9_SB_S6_PS7_PS2_21rocsparse_index_base_SE_SE_bbb,comdat
.Lfunc_end0:
	.size	_ZN9rocsparseL29csrgeam_fill_multipass_kernelILj256ELj32EiifEEvllNS_24const_host_device_scalarIT3_EEPKT1_PKT2_PKS2_S3_S6_S9_SB_S6_PS7_PS2_21rocsparse_index_base_SE_SE_bbb, .Lfunc_end0-_ZN9rocsparseL29csrgeam_fill_multipass_kernelILj256ELj32EiifEEvllNS_24const_host_device_scalarIT3_EEPKT1_PKT2_PKS2_S3_S6_S9_SB_S6_PS7_PS2_21rocsparse_index_base_SE_SE_bbb
                                        ; -- End function
	.section	.AMDGPU.csdata,"",@progbits
; Kernel info:
; codeLenInByte = 1464
; NumSgprs: 30
; NumVgprs: 30
; NumAgprs: 0
; TotalNumVgprs: 30
; ScratchSize: 0
; MemoryBound: 0
; FloatMode: 240
; IeeeMode: 1
; LDSByteSize: 1280 bytes/workgroup (compile time only)
; SGPRBlocks: 3
; VGPRBlocks: 3
; NumSGPRsForWavesPerEU: 30
; NumVGPRsForWavesPerEU: 30
; AccumOffset: 32
; Occupancy: 8
; WaveLimiterHint : 1
; COMPUTE_PGM_RSRC2:SCRATCH_EN: 0
; COMPUTE_PGM_RSRC2:USER_SGPR: 6
; COMPUTE_PGM_RSRC2:TRAP_HANDLER: 0
; COMPUTE_PGM_RSRC2:TGID_X_EN: 1
; COMPUTE_PGM_RSRC2:TGID_Y_EN: 0
; COMPUTE_PGM_RSRC2:TGID_Z_EN: 0
; COMPUTE_PGM_RSRC2:TIDIG_COMP_CNT: 0
; COMPUTE_PGM_RSRC3_GFX90A:ACCUM_OFFSET: 7
; COMPUTE_PGM_RSRC3_GFX90A:TG_SPLIT: 0
	.section	.text._ZN9rocsparseL29csrgeam_fill_multipass_kernelILj256ELj64EiifEEvllNS_24const_host_device_scalarIT3_EEPKT1_PKT2_PKS2_S3_S6_S9_SB_S6_PS7_PS2_21rocsparse_index_base_SE_SE_bbb,"axG",@progbits,_ZN9rocsparseL29csrgeam_fill_multipass_kernelILj256ELj64EiifEEvllNS_24const_host_device_scalarIT3_EEPKT1_PKT2_PKS2_S3_S6_S9_SB_S6_PS7_PS2_21rocsparse_index_base_SE_SE_bbb,comdat
	.globl	_ZN9rocsparseL29csrgeam_fill_multipass_kernelILj256ELj64EiifEEvllNS_24const_host_device_scalarIT3_EEPKT1_PKT2_PKS2_S3_S6_S9_SB_S6_PS7_PS2_21rocsparse_index_base_SE_SE_bbb ; -- Begin function _ZN9rocsparseL29csrgeam_fill_multipass_kernelILj256ELj64EiifEEvllNS_24const_host_device_scalarIT3_EEPKT1_PKT2_PKS2_S3_S6_S9_SB_S6_PS7_PS2_21rocsparse_index_base_SE_SE_bbb
	.p2align	8
	.type	_ZN9rocsparseL29csrgeam_fill_multipass_kernelILj256ELj64EiifEEvllNS_24const_host_device_scalarIT3_EEPKT1_PKT2_PKS2_S3_S6_S9_SB_S6_PS7_PS2_21rocsparse_index_base_SE_SE_bbb,@function
_ZN9rocsparseL29csrgeam_fill_multipass_kernelILj256ELj64EiifEEvllNS_24const_host_device_scalarIT3_EEPKT1_PKT2_PKS2_S3_S6_S9_SB_S6_PS7_PS2_21rocsparse_index_base_SE_SE_bbb: ; @_ZN9rocsparseL29csrgeam_fill_multipass_kernelILj256ELj64EiifEEvllNS_24const_host_device_scalarIT3_EEPKT1_PKT2_PKS2_S3_S6_S9_SB_S6_PS7_PS2_21rocsparse_index_base_SE_SE_bbb
; %bb.0:
	s_load_dwordx4 s[8:11], s[4:5], 0x68
	s_load_dwordx2 s[2:3], s[4:5], 0x30
	s_load_dword s7, s[4:5], 0x74
	s_load_dwordx4 s[12:15], s[4:5], 0x0
	s_load_dwordx2 s[18:19], s[4:5], 0x10
	s_waitcnt lgkmcnt(0)
	s_bitcmp1_b32 s11, 0
	s_cselect_b64 s[0:1], -1, 0
	s_bitcmp1_b32 s7, 16
	s_cselect_b64 s[16:17], -1, 0
	s_xor_b64 s[20:21], s[0:1], -1
	s_or_b64 s[20:21], s[20:21], s[16:17]
	s_and_b64 vcc, exec, s[20:21]
	s_cbranch_vccnz .LBB1_2
; %bb.1:
	s_load_dword s0, s[18:19], 0x0
	s_waitcnt lgkmcnt(0)
	v_mov_b32_e32 v12, s0
	s_branch .LBB1_3
.LBB1_2:
	v_mov_b32_e32 v1, s18
	v_cndmask_b32_e64 v12, 0, v1, s[0:1]
.LBB1_3:
	s_bitcmp1_b32 s7, 8
	s_cselect_b64 s[0:1], -1, 0
	s_xor_b64 s[18:19], s[0:1], -1
	s_or_b64 s[16:17], s[18:19], s[16:17]
	s_and_b64 vcc, exec, s[16:17]
	s_cbranch_vccnz .LBB1_5
; %bb.4:
	s_load_dword s0, s[2:3], 0x0
	s_waitcnt lgkmcnt(0)
	v_mov_b32_e32 v13, s0
	s_branch .LBB1_6
.LBB1_5:
	v_mov_b32_e32 v1, s2
	v_cndmask_b32_e64 v13, 0, v1, s[0:1]
.LBB1_6:
	s_lshl_b32 s0, s6, 2
	v_lshrrev_b32_e32 v1, 6, v0
	s_and_b32 s0, s0, 0x3fffffc
	v_or_b32_e32 v2, s0, v1
	v_mov_b32_e32 v3, 0
	v_cmp_gt_i64_e32 vcc, s[12:13], v[2:3]
	s_and_saveexec_b64 s[0:1], vcc
	s_cbranch_execz .LBB1_35
; %bb.7:
	s_load_dwordx4 s[0:3], s[4:5], 0x18
	s_load_dwordx2 s[6:7], s[4:5], 0x38
	s_load_dwordx2 s[12:13], s[4:5], 0x50
	v_lshlrev_b32_e32 v6, 2, v2
	s_waitcnt lgkmcnt(0)
	global_load_dwordx2 v[4:5], v6, s[0:1]
	global_load_dwordx2 v[2:3], v6, s[6:7]
	global_load_dword v1, v6, s[12:13]
	s_waitcnt vmcnt(2)
	v_cmp_ge_i32_e32 vcc, v4, v5
	s_and_saveexec_b64 s[0:1], vcc
	s_xor_b64 s[0:1], exec, s[0:1]
	s_or_saveexec_b64 s[0:1], s[0:1]
	v_subrev_u32_e32 v6, s8, v4
	v_mov_b32_e32 v4, s14
	s_xor_b64 exec, exec, s[0:1]
	s_cbranch_execz .LBB1_9
; %bb.8:
	v_ashrrev_i32_e32 v7, 31, v6
	v_lshlrev_b64 v[8:9], 2, v[6:7]
	v_mov_b32_e32 v4, s3
	v_add_co_u32_e32 v8, vcc, s2, v8
	v_addc_co_u32_e32 v9, vcc, v4, v9, vcc
	global_load_dword v4, v[8:9], off
	s_waitcnt vmcnt(0)
	v_subrev_u32_e32 v4, s8, v4
.LBB1_9:
	s_or_b64 exec, exec, s[0:1]
	s_load_dwordx2 s[6:7], s[4:5], 0x40
	s_waitcnt vmcnt(1)
	v_cmp_ge_i32_e32 vcc, v2, v3
	s_and_saveexec_b64 s[0:1], vcc
	s_xor_b64 s[0:1], exec, s[0:1]
	s_or_saveexec_b64 s[0:1], s[0:1]
	s_load_dwordx4 s[16:19], s[4:5], 0x58
	s_load_dwordx2 s[12:13], s[4:5], 0x48
	s_load_dwordx2 s[20:21], s[4:5], 0x28
	v_subrev_u32_e32 v10, s9, v2
	v_mov_b32_e32 v14, s14
	v_mov_b32_e32 v2, s14
	s_xor_b64 exec, exec, s[0:1]
	s_cbranch_execz .LBB1_11
; %bb.10:
	v_ashrrev_i32_e32 v11, 31, v10
	v_lshlrev_b64 v[8:9], 2, v[10:11]
	s_waitcnt lgkmcnt(0)
	v_mov_b32_e32 v2, s7
	v_add_co_u32_e32 v8, vcc, s6, v8
	v_addc_co_u32_e32 v9, vcc, v2, v9, vcc
	global_load_dword v2, v[8:9], off
	v_mov_b32_e32 v14, s14
	s_waitcnt vmcnt(0)
	v_subrev_u32_e32 v2, s9, v2
.LBB1_11:
	s_or_b64 exec, exec, s[0:1]
	v_subrev_u32_e32 v18, s9, v3
	v_mbcnt_lo_u32_b32 v3, -1, 0
	v_mbcnt_hi_u32_b32 v3, -1, v3
	v_min_i32_e32 v8, v2, v4
	v_and_b32_e32 v4, 64, v3
	v_add_u32_e32 v4, 64, v4
	v_xor_b32_e32 v9, 32, v3
	v_cmp_lt_i32_e32 vcc, v9, v4
	v_cndmask_b32_e32 v9, v3, v9, vcc
	v_lshlrev_b32_e32 v22, 2, v9
	v_xor_b32_e32 v9, 16, v3
	v_cmp_lt_i32_e32 vcc, v9, v4
	v_cndmask_b32_e32 v9, v3, v9, vcc
	v_lshlrev_b32_e32 v23, 2, v9
	;; [unrolled: 4-line block ×5, first 2 shown]
	v_xor_b32_e32 v9, 1, v3
	v_and_b32_e32 v7, 0xc0, v0
	s_waitcnt vmcnt(0)
	v_subrev_u32_e32 v19, s10, v1
	v_and_b32_e32 v1, 63, v0
	v_cmp_lt_i32_e32 vcc, v9, v4
	v_or_b32_e32 v15, 0x400, v7
	v_lshlrev_b32_e32 v16, 2, v7
	v_add_u32_e32 v0, v6, v1
	v_xor_b32_e32 v6, 63, v1
	v_cndmask_b32_e32 v3, v3, v9, vcc
	v_subrev_u32_e32 v17, s8, v5
	v_add_u32_e32 v2, v10, v1
	v_lshl_or_b32 v20, v1, 2, v16
	v_mov_b32_e32 v5, 0
	v_lshrrev_b64 v[6:7], v6, -1
	v_add_u32_e32 v21, s10, v1
	v_lshlrev_b32_e32 v27, 2, v3
	s_mov_b64 s[4:5], 0
	v_add_u32_e32 v28, v15, v1
	v_mov_b32_e32 v29, 1
	s_branch .LBB1_13
.LBB1_12:                               ;   in Loop: Header=BB1_13 Depth=1
	s_or_b64 exec, exec, s[10:11]
	ds_bpermute_b32 v1, v22, v9
	s_bcnt1_i32_b64 s0, vcc
	v_add_u32_e32 v19, s0, v19
	s_waitcnt lgkmcnt(0)
	v_min_i32_e32 v1, v1, v9
	ds_bpermute_b32 v3, v23, v1
	s_waitcnt lgkmcnt(0)
	v_min_i32_e32 v1, v3, v1
	ds_bpermute_b32 v3, v24, v1
	;; [unrolled: 3-line block ×5, first 2 shown]
	s_waitcnt lgkmcnt(0)
	v_min_i32_e32 v8, v3, v1
	v_ashrrev_i32_e32 v9, 31, v8
	v_cmp_le_i64_e32 vcc, s[14:15], v[8:9]
	s_or_b64 s[4:5], vcc, s[4:5]
	s_andn2_b64 exec, exec, s[4:5]
	s_cbranch_execz .LBB1_35
.LBB1_13:                               ; =>This Loop Header: Depth=1
                                        ;     Child Loop BB1_16 Depth 2
                                        ;     Child Loop BB1_26 Depth 2
	v_cmp_lt_i32_e32 vcc, v0, v17
	v_mov_b32_e32 v9, v14
	ds_write_b8 v28, v5
	ds_write_b32 v20, v5
	s_waitcnt lgkmcnt(0)
	s_and_saveexec_b64 s[10:11], vcc
	s_cbranch_execz .LBB1_23
; %bb.14:                               ;   in Loop: Header=BB1_13 Depth=1
	s_mov_b64 s[22:23], 0
	v_mov_b32_e32 v9, v14
	s_branch .LBB1_16
.LBB1_15:                               ;   in Loop: Header=BB1_16 Depth=2
	s_or_b64 exec, exec, s[24:25]
	s_and_b64 s[0:1], exec, s[0:1]
	s_or_b64 s[22:23], s[0:1], s[22:23]
	s_andn2_b64 exec, exec, s[22:23]
	s_cbranch_execz .LBB1_22
.LBB1_16:                               ;   Parent Loop BB1_13 Depth=1
                                        ; =>  This Inner Loop Header: Depth=2
	v_ashrrev_i32_e32 v1, 31, v0
	v_lshlrev_b64 v[10:11], 2, v[0:1]
	v_mov_b32_e32 v1, s3
	v_add_co_u32_e32 v30, vcc, s2, v10
	v_addc_co_u32_e32 v31, vcc, v1, v11, vcc
	global_load_dword v1, v[30:31], off
	s_waitcnt vmcnt(0)
	v_subrev_u32_e32 v3, s8, v1
	v_sub_u32_e32 v1, v3, v8
	v_cmp_gt_u32_e32 vcc, 64, v1
	v_cmp_lt_u32_e64 s[0:1], 63, v1
	s_and_saveexec_b64 s[24:25], s[0:1]
	s_xor_b64 s[0:1], exec, s[24:25]
	s_cbranch_execnz .LBB1_19
; %bb.17:                               ;   in Loop: Header=BB1_16 Depth=2
	s_andn2_saveexec_b64 s[24:25], s[0:1]
	s_cbranch_execnz .LBB1_20
.LBB1_18:                               ;   in Loop: Header=BB1_16 Depth=2
	s_or_b64 exec, exec, s[24:25]
	s_mov_b64 s[0:1], -1
	s_and_saveexec_b64 s[24:25], vcc
	s_cbranch_execz .LBB1_15
	s_branch .LBB1_21
.LBB1_19:                               ;   in Loop: Header=BB1_16 Depth=2
	v_min_i32_e32 v9, v3, v9
                                        ; implicit-def: $vgpr1
                                        ; implicit-def: $vgpr10_vgpr11
	s_andn2_saveexec_b64 s[24:25], s[0:1]
	s_cbranch_execz .LBB1_18
.LBB1_20:                               ;   in Loop: Header=BB1_16 Depth=2
	v_mov_b32_e32 v3, s21
	v_add_co_u32_e64 v10, s[0:1], s20, v10
	v_addc_co_u32_e64 v11, s[0:1], v3, v11, s[0:1]
	global_load_dword v3, v[10:11], off
	v_add_u32_e32 v4, v15, v1
	v_lshl_add_u32 v1, v1, 2, v16
	ds_write_b8 v4, v29
	s_waitcnt vmcnt(0)
	v_mul_f32_e32 v3, v12, v3
	ds_write_b32 v1, v3
	s_or_b64 exec, exec, s[24:25]
	s_mov_b64 s[0:1], -1
	s_and_saveexec_b64 s[24:25], vcc
	s_cbranch_execz .LBB1_15
.LBB1_21:                               ;   in Loop: Header=BB1_16 Depth=2
	v_add_u32_e32 v0, 64, v0
	v_cmp_ge_i32_e32 vcc, v0, v17
	s_orn2_b64 s[0:1], vcc, exec
	s_branch .LBB1_15
.LBB1_22:                               ;   in Loop: Header=BB1_13 Depth=1
	s_or_b64 exec, exec, s[22:23]
.LBB1_23:                               ;   in Loop: Header=BB1_13 Depth=1
	s_or_b64 exec, exec, s[10:11]
	v_cmp_lt_i32_e32 vcc, v2, v18
	s_waitcnt lgkmcnt(0)
	s_and_saveexec_b64 s[10:11], vcc
	s_cbranch_execz .LBB1_33
; %bb.24:                               ;   in Loop: Header=BB1_13 Depth=1
	s_mov_b64 s[22:23], 0
	s_branch .LBB1_26
.LBB1_25:                               ;   in Loop: Header=BB1_26 Depth=2
	s_or_b64 exec, exec, s[24:25]
	s_and_b64 s[0:1], exec, s[0:1]
	s_or_b64 s[22:23], s[0:1], s[22:23]
	s_andn2_b64 exec, exec, s[22:23]
	s_cbranch_execz .LBB1_32
.LBB1_26:                               ;   Parent Loop BB1_13 Depth=1
                                        ; =>  This Inner Loop Header: Depth=2
	v_ashrrev_i32_e32 v3, 31, v2
	v_lshlrev_b64 v[10:11], 2, v[2:3]
	v_mov_b32_e32 v1, s7
	v_add_co_u32_e32 v30, vcc, s6, v10
	v_addc_co_u32_e32 v31, vcc, v1, v11, vcc
	global_load_dword v1, v[30:31], off
	s_waitcnt vmcnt(0)
	v_subrev_u32_e32 v3, s9, v1
	v_sub_u32_e32 v1, v3, v8
	v_cmp_gt_u32_e32 vcc, 64, v1
	v_cmp_lt_u32_e64 s[0:1], 63, v1
	s_and_saveexec_b64 s[24:25], s[0:1]
	s_xor_b64 s[0:1], exec, s[24:25]
	s_cbranch_execnz .LBB1_29
; %bb.27:                               ;   in Loop: Header=BB1_26 Depth=2
	s_andn2_saveexec_b64 s[24:25], s[0:1]
	s_cbranch_execnz .LBB1_30
.LBB1_28:                               ;   in Loop: Header=BB1_26 Depth=2
	s_or_b64 exec, exec, s[24:25]
	s_mov_b64 s[0:1], -1
	s_and_saveexec_b64 s[24:25], vcc
	s_cbranch_execz .LBB1_25
	s_branch .LBB1_31
.LBB1_29:                               ;   in Loop: Header=BB1_26 Depth=2
	v_min_i32_e32 v9, v3, v9
                                        ; implicit-def: $vgpr1
                                        ; implicit-def: $vgpr10_vgpr11
	s_andn2_saveexec_b64 s[24:25], s[0:1]
	s_cbranch_execz .LBB1_28
.LBB1_30:                               ;   in Loop: Header=BB1_26 Depth=2
	v_mov_b32_e32 v3, s13
	v_add_co_u32_e64 v10, s[0:1], s12, v10
	v_addc_co_u32_e64 v11, s[0:1], v3, v11, s[0:1]
	global_load_dword v3, v[10:11], off
	v_lshl_add_u32 v4, v1, 2, v16
	ds_read_b32 v10, v4
	v_add_u32_e32 v1, v15, v1
	ds_write_b8 v1, v29
	s_waitcnt vmcnt(0) lgkmcnt(1)
	v_fmac_f32_e32 v10, v13, v3
	ds_write_b32 v4, v10
	s_or_b64 exec, exec, s[24:25]
	s_mov_b64 s[0:1], -1
	s_and_saveexec_b64 s[24:25], vcc
	s_cbranch_execz .LBB1_25
.LBB1_31:                               ;   in Loop: Header=BB1_26 Depth=2
	v_add_u32_e32 v2, 64, v2
	v_cmp_ge_i32_e32 vcc, v2, v18
	s_orn2_b64 s[0:1], vcc, exec
	s_branch .LBB1_25
.LBB1_32:                               ;   in Loop: Header=BB1_13 Depth=1
	s_or_b64 exec, exec, s[22:23]
.LBB1_33:                               ;   in Loop: Header=BB1_13 Depth=1
	s_or_b64 exec, exec, s[10:11]
	s_waitcnt lgkmcnt(0)
	ds_read_u8 v1, v28
	s_waitcnt lgkmcnt(0)
	v_and_b32_e32 v3, 1, v1
	v_cmp_eq_u32_e64 s[0:1], 1, v3
	v_cmp_ne_u16_e32 vcc, 0, v1
	s_and_saveexec_b64 s[10:11], s[0:1]
	s_cbranch_execz .LBB1_12
; %bb.34:                               ;   in Loop: Header=BB1_13 Depth=1
	v_and_b32_e32 v3, vcc_lo, v6
	v_and_b32_e32 v1, vcc_hi, v7
	v_bcnt_u32_b32 v3, v3, 0
	v_bcnt_u32_b32 v1, v1, v3
	v_add3_u32 v4, v19, v1, -1
	v_lshlrev_b64 v[10:11], 2, v[4:5]
	v_mov_b32_e32 v1, s17
	v_add_co_u32_e64 v30, s[0:1], s16, v10
	v_addc_co_u32_e64 v31, s[0:1], v1, v11, s[0:1]
	ds_read_b32 v1, v20
	v_add_u32_e32 v3, v21, v8
	global_store_dword v[30:31], v3, off
	v_mov_b32_e32 v3, s19
	v_add_co_u32_e64 v10, s[0:1], s18, v10
	v_addc_co_u32_e64 v11, s[0:1], v3, v11, s[0:1]
	s_waitcnt lgkmcnt(0)
	global_store_dword v[10:11], v1, off
	s_branch .LBB1_12
.LBB1_35:
	s_endpgm
	.section	.rodata,"a",@progbits
	.p2align	6, 0x0
	.amdhsa_kernel _ZN9rocsparseL29csrgeam_fill_multipass_kernelILj256ELj64EiifEEvllNS_24const_host_device_scalarIT3_EEPKT1_PKT2_PKS2_S3_S6_S9_SB_S6_PS7_PS2_21rocsparse_index_base_SE_SE_bbb
		.amdhsa_group_segment_fixed_size 1280
		.amdhsa_private_segment_fixed_size 0
		.amdhsa_kernarg_size 120
		.amdhsa_user_sgpr_count 6
		.amdhsa_user_sgpr_private_segment_buffer 1
		.amdhsa_user_sgpr_dispatch_ptr 0
		.amdhsa_user_sgpr_queue_ptr 0
		.amdhsa_user_sgpr_kernarg_segment_ptr 1
		.amdhsa_user_sgpr_dispatch_id 0
		.amdhsa_user_sgpr_flat_scratch_init 0
		.amdhsa_user_sgpr_kernarg_preload_length 0
		.amdhsa_user_sgpr_kernarg_preload_offset 0
		.amdhsa_user_sgpr_private_segment_size 0
		.amdhsa_uses_dynamic_stack 0
		.amdhsa_system_sgpr_private_segment_wavefront_offset 0
		.amdhsa_system_sgpr_workgroup_id_x 1
		.amdhsa_system_sgpr_workgroup_id_y 0
		.amdhsa_system_sgpr_workgroup_id_z 0
		.amdhsa_system_sgpr_workgroup_info 0
		.amdhsa_system_vgpr_workitem_id 0
		.amdhsa_next_free_vgpr 32
		.amdhsa_next_free_sgpr 26
		.amdhsa_accum_offset 32
		.amdhsa_reserve_vcc 1
		.amdhsa_reserve_flat_scratch 0
		.amdhsa_float_round_mode_32 0
		.amdhsa_float_round_mode_16_64 0
		.amdhsa_float_denorm_mode_32 3
		.amdhsa_float_denorm_mode_16_64 3
		.amdhsa_dx10_clamp 1
		.amdhsa_ieee_mode 1
		.amdhsa_fp16_overflow 0
		.amdhsa_tg_split 0
		.amdhsa_exception_fp_ieee_invalid_op 0
		.amdhsa_exception_fp_denorm_src 0
		.amdhsa_exception_fp_ieee_div_zero 0
		.amdhsa_exception_fp_ieee_overflow 0
		.amdhsa_exception_fp_ieee_underflow 0
		.amdhsa_exception_fp_ieee_inexact 0
		.amdhsa_exception_int_div_zero 0
	.end_amdhsa_kernel
	.section	.text._ZN9rocsparseL29csrgeam_fill_multipass_kernelILj256ELj64EiifEEvllNS_24const_host_device_scalarIT3_EEPKT1_PKT2_PKS2_S3_S6_S9_SB_S6_PS7_PS2_21rocsparse_index_base_SE_SE_bbb,"axG",@progbits,_ZN9rocsparseL29csrgeam_fill_multipass_kernelILj256ELj64EiifEEvllNS_24const_host_device_scalarIT3_EEPKT1_PKT2_PKS2_S3_S6_S9_SB_S6_PS7_PS2_21rocsparse_index_base_SE_SE_bbb,comdat
.Lfunc_end1:
	.size	_ZN9rocsparseL29csrgeam_fill_multipass_kernelILj256ELj64EiifEEvllNS_24const_host_device_scalarIT3_EEPKT1_PKT2_PKS2_S3_S6_S9_SB_S6_PS7_PS2_21rocsparse_index_base_SE_SE_bbb, .Lfunc_end1-_ZN9rocsparseL29csrgeam_fill_multipass_kernelILj256ELj64EiifEEvllNS_24const_host_device_scalarIT3_EEPKT1_PKT2_PKS2_S3_S6_S9_SB_S6_PS7_PS2_21rocsparse_index_base_SE_SE_bbb
                                        ; -- End function
	.section	.AMDGPU.csdata,"",@progbits
; Kernel info:
; codeLenInByte = 1508
; NumSgprs: 30
; NumVgprs: 32
; NumAgprs: 0
; TotalNumVgprs: 32
; ScratchSize: 0
; MemoryBound: 0
; FloatMode: 240
; IeeeMode: 1
; LDSByteSize: 1280 bytes/workgroup (compile time only)
; SGPRBlocks: 3
; VGPRBlocks: 3
; NumSGPRsForWavesPerEU: 30
; NumVGPRsForWavesPerEU: 32
; AccumOffset: 32
; Occupancy: 8
; WaveLimiterHint : 1
; COMPUTE_PGM_RSRC2:SCRATCH_EN: 0
; COMPUTE_PGM_RSRC2:USER_SGPR: 6
; COMPUTE_PGM_RSRC2:TRAP_HANDLER: 0
; COMPUTE_PGM_RSRC2:TGID_X_EN: 1
; COMPUTE_PGM_RSRC2:TGID_Y_EN: 0
; COMPUTE_PGM_RSRC2:TGID_Z_EN: 0
; COMPUTE_PGM_RSRC2:TIDIG_COMP_CNT: 0
; COMPUTE_PGM_RSRC3_GFX90A:ACCUM_OFFSET: 7
; COMPUTE_PGM_RSRC3_GFX90A:TG_SPLIT: 0
	.section	.text._ZN9rocsparseL29csrgeam_fill_multipass_kernelILj256ELj32ElifEEvllNS_24const_host_device_scalarIT3_EEPKT1_PKT2_PKS2_S3_S6_S9_SB_S6_PS7_PS2_21rocsparse_index_base_SE_SE_bbb,"axG",@progbits,_ZN9rocsparseL29csrgeam_fill_multipass_kernelILj256ELj32ElifEEvllNS_24const_host_device_scalarIT3_EEPKT1_PKT2_PKS2_S3_S6_S9_SB_S6_PS7_PS2_21rocsparse_index_base_SE_SE_bbb,comdat
	.globl	_ZN9rocsparseL29csrgeam_fill_multipass_kernelILj256ELj32ElifEEvllNS_24const_host_device_scalarIT3_EEPKT1_PKT2_PKS2_S3_S6_S9_SB_S6_PS7_PS2_21rocsparse_index_base_SE_SE_bbb ; -- Begin function _ZN9rocsparseL29csrgeam_fill_multipass_kernelILj256ELj32ElifEEvllNS_24const_host_device_scalarIT3_EEPKT1_PKT2_PKS2_S3_S6_S9_SB_S6_PS7_PS2_21rocsparse_index_base_SE_SE_bbb
	.p2align	8
	.type	_ZN9rocsparseL29csrgeam_fill_multipass_kernelILj256ELj32ElifEEvllNS_24const_host_device_scalarIT3_EEPKT1_PKT2_PKS2_S3_S6_S9_SB_S6_PS7_PS2_21rocsparse_index_base_SE_SE_bbb,@function
_ZN9rocsparseL29csrgeam_fill_multipass_kernelILj256ELj32ElifEEvllNS_24const_host_device_scalarIT3_EEPKT1_PKT2_PKS2_S3_S6_S9_SB_S6_PS7_PS2_21rocsparse_index_base_SE_SE_bbb: ; @_ZN9rocsparseL29csrgeam_fill_multipass_kernelILj256ELj32ElifEEvllNS_24const_host_device_scalarIT3_EEPKT1_PKT2_PKS2_S3_S6_S9_SB_S6_PS7_PS2_21rocsparse_index_base_SE_SE_bbb
; %bb.0:
	s_load_dwordx4 s[8:11], s[4:5], 0x68
	s_load_dwordx2 s[2:3], s[4:5], 0x30
	s_load_dword s7, s[4:5], 0x74
	s_load_dwordx4 s[12:15], s[4:5], 0x0
	s_load_dwordx2 s[18:19], s[4:5], 0x10
	s_waitcnt lgkmcnt(0)
	s_bitcmp1_b32 s11, 0
	s_cselect_b64 s[0:1], -1, 0
	s_bitcmp1_b32 s7, 16
	s_cselect_b64 s[16:17], -1, 0
	s_xor_b64 s[20:21], s[0:1], -1
	s_or_b64 s[20:21], s[20:21], s[16:17]
	s_and_b64 vcc, exec, s[20:21]
	s_cbranch_vccnz .LBB2_2
; %bb.1:
	s_load_dword s0, s[18:19], 0x0
	s_waitcnt lgkmcnt(0)
	v_mov_b32_e32 v18, s0
	s_branch .LBB2_3
.LBB2_2:
	v_mov_b32_e32 v1, s18
	v_cndmask_b32_e64 v18, 0, v1, s[0:1]
.LBB2_3:
	s_bitcmp1_b32 s7, 8
	s_cselect_b64 s[0:1], -1, 0
	s_xor_b64 s[18:19], s[0:1], -1
	s_or_b64 s[16:17], s[18:19], s[16:17]
	s_and_b64 vcc, exec, s[16:17]
	s_cbranch_vccnz .LBB2_5
; %bb.4:
	s_load_dword s0, s[2:3], 0x0
	s_waitcnt lgkmcnt(0)
	v_mov_b32_e32 v19, s0
	s_branch .LBB2_6
.LBB2_5:
	v_mov_b32_e32 v1, s2
	v_cndmask_b32_e64 v19, 0, v1, s[0:1]
.LBB2_6:
	s_lshl_b32 s0, s6, 3
	v_lshrrev_b32_e32 v1, 5, v0
	s_and_b32 s0, s0, 0x7fffff8
	v_or_b32_e32 v2, s0, v1
	v_mov_b32_e32 v3, 0
	v_cmp_gt_i64_e32 vcc, s[12:13], v[2:3]
	s_and_saveexec_b64 s[0:1], vcc
	s_cbranch_execz .LBB2_35
; %bb.7:
	s_load_dwordx4 s[0:3], s[4:5], 0x18
	s_load_dwordx2 s[6:7], s[4:5], 0x50
	s_load_dwordx2 s[12:13], s[4:5], 0x38
	v_lshlrev_b32_e32 v1, 3, v2
	s_mov_b32 s22, 0
	s_mov_b32 s11, s8
	s_waitcnt lgkmcnt(0)
	global_load_dwordx4 v[2:5], v1, s[0:1]
	global_load_dwordx4 v[6:9], v1, s[12:13]
	global_load_dwordx2 v[12:13], v1, s[6:7]
	s_waitcnt vmcnt(2)
	v_subrev_co_u32_e32 v10, vcc, s8, v2
	v_subbrev_co_u32_e32 v11, vcc, 0, v3, vcc
	v_cmp_ge_i64_e32 vcc, v[2:3], v[4:5]
	s_and_saveexec_b64 s[0:1], vcc
	s_xor_b64 s[0:1], exec, s[0:1]
	s_or_saveexec_b64 s[0:1], s[0:1]
	v_mov_b32_e32 v16, s14
	s_xor_b64 exec, exec, s[0:1]
	s_cbranch_execz .LBB2_9
; %bb.8:
	v_lshlrev_b64 v[2:3], 2, v[10:11]
	v_mov_b32_e32 v1, s3
	v_add_co_u32_e32 v2, vcc, s2, v2
	v_addc_co_u32_e32 v3, vcc, v1, v3, vcc
	global_load_dword v1, v[2:3], off
	s_waitcnt vmcnt(0)
	v_subrev_u32_e32 v16, s8, v1
.LBB2_9:
	s_or_b64 exec, exec, s[0:1]
	s_load_dwordx4 s[16:19], s[4:5], 0x58
	s_load_dwordx2 s[6:7], s[4:5], 0x40
	s_waitcnt vmcnt(1)
	v_subrev_co_u32_e32 v14, vcc, s9, v6
	v_subbrev_co_u32_e32 v15, vcc, 0, v7, vcc
	s_mov_b32 s23, 0
	s_mov_b32 s24, s9
	v_cmp_ge_i64_e32 vcc, v[6:7], v[8:9]
	s_and_saveexec_b64 s[0:1], vcc
	s_xor_b64 s[0:1], exec, s[0:1]
	s_or_saveexec_b64 s[0:1], s[0:1]
	s_load_dwordx2 s[12:13], s[4:5], 0x48
	s_load_dwordx2 s[20:21], s[4:5], 0x28
	v_mov_b32_e32 v7, s14
	v_mov_b32_e32 v17, s14
	s_xor_b64 exec, exec, s[0:1]
	s_cbranch_execz .LBB2_11
; %bb.10:
	v_lshlrev_b64 v[2:3], 2, v[14:15]
	s_waitcnt lgkmcnt(0)
	v_mov_b32_e32 v1, s7
	v_add_co_u32_e32 v2, vcc, s6, v2
	v_addc_co_u32_e32 v3, vcc, v1, v3, vcc
	global_load_dword v1, v[2:3], off
	v_mov_b32_e32 v7, s14
	s_waitcnt vmcnt(0)
	v_subrev_u32_e32 v17, s9, v1
.LBB2_11:
	s_or_b64 exec, exec, s[0:1]
	v_and_b32_e32 v1, 0xe0, v0
	v_or_b32_e32 v20, 0x400, v1
	v_lshlrev_b32_e32 v21, 2, v1
	v_mov_b32_e32 v1, s22
	v_subrev_co_u32_e32 v2, vcc, s11, v4
	v_subb_co_u32_e32 v3, vcc, v5, v1, vcc
	v_mov_b32_e32 v1, s23
	v_subrev_co_u32_e32 v4, vcc, s24, v8
	v_subb_co_u32_e32 v5, vcc, v9, v1, vcc
	s_waitcnt vmcnt(0)
	v_subrev_co_u32_e32 v6, vcc, s10, v12
	v_subbrev_co_u32_e32 v1, vcc, 0, v13, vcc
	v_and_b32_e32 v13, 31, v0
	v_add_co_u32_e32 v8, vcc, v10, v13
	v_addc_co_u32_e32 v9, vcc, 0, v11, vcc
	v_add_co_u32_e32 v10, vcc, v14, v13
	v_mbcnt_lo_u32_b32 v14, -1, 0
	v_mbcnt_hi_u32_b32 v14, -1, v14
	v_min_i32_e32 v12, v17, v16
	v_addc_co_u32_e32 v11, vcc, 0, v15, vcc
	v_and_b32_e32 v15, 64, v14
	v_xor_b32_e32 v16, 31, v13
	v_add_u32_e32 v15, 64, v15
	v_lshrrev_b32_e64 v23, v16, -1
	v_xor_b32_e32 v16, 16, v14
	v_cmp_lt_i32_e32 vcc, v16, v15
	v_cndmask_b32_e32 v16, v14, v16, vcc
	v_lshlrev_b32_e32 v25, 2, v16
	v_xor_b32_e32 v16, 8, v14
	v_cmp_lt_i32_e32 vcc, v16, v15
	v_cndmask_b32_e32 v16, v14, v16, vcc
	v_lshlrev_b32_e32 v26, 2, v16
	;; [unrolled: 4-line block ×4, first 2 shown]
	v_xor_b32_e32 v16, 1, v14
	s_waitcnt lgkmcnt(0)
	s_add_u32 s22, s16, -4
	v_cmp_lt_i32_e32 vcc, v16, v15
	s_addc_u32 s23, s17, -1
	v_cndmask_b32_e32 v14, v14, v16, vcc
	s_add_u32 s24, s18, -4
	v_mov_b32_e32 v0, 0
	v_lshl_or_b32 v22, v13, 2, v21
	v_add_u32_e32 v24, s10, v13
	v_lshlrev_b32_e32 v29, 2, v14
	s_addc_u32 s25, s19, -1
	s_mov_b64 s[4:5], 0
	v_add_u32_e32 v30, v20, v13
	v_mov_b32_e32 v31, 1
	s_branch .LBB2_13
.LBB2_12:                               ;   in Loop: Header=BB2_13 Depth=1
	s_or_b64 exec, exec, s[10:11]
	ds_bpermute_b32 v12, v25, v13
	s_bcnt1_i32_b64 s0, vcc
	s_waitcnt lgkmcnt(0)
	v_min_i32_e32 v12, v12, v13
	ds_bpermute_b32 v13, v26, v12
	s_waitcnt lgkmcnt(0)
	v_min_i32_e32 v12, v13, v12
	ds_bpermute_b32 v13, v27, v12
	;; [unrolled: 3-line block ×4, first 2 shown]
	s_waitcnt lgkmcnt(0)
	v_min_i32_e32 v12, v13, v12
	v_ashrrev_i32_e32 v13, 31, v12
	v_cmp_le_i64_e32 vcc, s[14:15], v[12:13]
	s_or_b64 s[4:5], vcc, s[4:5]
	v_add_co_u32_e32 v6, vcc, s0, v6
	v_addc_co_u32_e32 v1, vcc, 0, v1, vcc
	s_andn2_b64 exec, exec, s[4:5]
	s_cbranch_execz .LBB2_35
.LBB2_13:                               ; =>This Loop Header: Depth=1
                                        ;     Child Loop BB2_16 Depth 2
                                        ;     Child Loop BB2_26 Depth 2
	v_cmp_lt_i64_e32 vcc, v[8:9], v[2:3]
	v_mov_b32_e32 v13, v7
	ds_write_b8 v30, v0
	ds_write_b32 v22, v0
	s_waitcnt lgkmcnt(0)
	s_and_saveexec_b64 s[10:11], vcc
	s_cbranch_execz .LBB2_23
; %bb.14:                               ;   in Loop: Header=BB2_13 Depth=1
	v_lshlrev_b64 v[16:17], 2, v[8:9]
	v_mov_b32_e32 v13, s3
	v_add_co_u32_e32 v14, vcc, s2, v16
	v_addc_co_u32_e32 v15, vcc, v13, v17, vcc
	v_mov_b32_e32 v13, s21
	v_add_co_u32_e32 v16, vcc, s20, v16
	v_addc_co_u32_e32 v17, vcc, v13, v17, vcc
	s_mov_b64 s[16:17], 0
	v_mov_b32_e32 v13, v7
	s_branch .LBB2_16
.LBB2_15:                               ;   in Loop: Header=BB2_16 Depth=2
	s_or_b64 exec, exec, s[0:1]
	s_and_b64 s[0:1], exec, s[18:19]
	s_or_b64 s[16:17], s[0:1], s[16:17]
	s_andn2_b64 exec, exec, s[16:17]
	s_cbranch_execz .LBB2_22
.LBB2_16:                               ;   Parent Loop BB2_13 Depth=1
                                        ; =>  This Inner Loop Header: Depth=2
	global_load_dword v32, v[14:15], off
	s_waitcnt vmcnt(0)
	v_subrev_u32_e32 v33, s8, v32
	v_sub_u32_e32 v32, v33, v12
	v_cmp_gt_u32_e32 vcc, 32, v32
	v_cmp_lt_u32_e64 s[0:1], 31, v32
	s_and_saveexec_b64 s[18:19], s[0:1]
	s_xor_b64 s[0:1], exec, s[18:19]
	s_cbranch_execnz .LBB2_19
; %bb.17:                               ;   in Loop: Header=BB2_16 Depth=2
	s_andn2_saveexec_b64 s[0:1], s[0:1]
	s_cbranch_execnz .LBB2_20
.LBB2_18:                               ;   in Loop: Header=BB2_16 Depth=2
	s_or_b64 exec, exec, s[0:1]
	s_mov_b64 s[18:19], -1
	s_and_saveexec_b64 s[0:1], vcc
	s_cbranch_execz .LBB2_15
	s_branch .LBB2_21
.LBB2_19:                               ;   in Loop: Header=BB2_16 Depth=2
	v_min_i32_e32 v13, v33, v13
                                        ; implicit-def: $vgpr32
	s_andn2_saveexec_b64 s[0:1], s[0:1]
	s_cbranch_execz .LBB2_18
.LBB2_20:                               ;   in Loop: Header=BB2_16 Depth=2
	global_load_dword v33, v[16:17], off
	v_add_u32_e32 v34, v20, v32
	v_lshl_add_u32 v32, v32, 2, v21
	ds_write_b8 v34, v31
	s_waitcnt vmcnt(0)
	v_mul_f32_e32 v33, v18, v33
	ds_write_b32 v32, v33
	s_or_b64 exec, exec, s[0:1]
	s_mov_b64 s[18:19], -1
	s_and_saveexec_b64 s[0:1], vcc
	s_cbranch_execz .LBB2_15
.LBB2_21:                               ;   in Loop: Header=BB2_16 Depth=2
	v_add_co_u32_e32 v8, vcc, 32, v8
	v_addc_co_u32_e32 v9, vcc, 0, v9, vcc
	v_add_co_u32_e32 v14, vcc, 0x80, v14
	v_addc_co_u32_e32 v15, vcc, 0, v15, vcc
	;; [unrolled: 2-line block ×3, first 2 shown]
	v_cmp_ge_i64_e32 vcc, v[8:9], v[2:3]
	s_orn2_b64 s[18:19], vcc, exec
	s_branch .LBB2_15
.LBB2_22:                               ;   in Loop: Header=BB2_13 Depth=1
	s_or_b64 exec, exec, s[16:17]
.LBB2_23:                               ;   in Loop: Header=BB2_13 Depth=1
	s_or_b64 exec, exec, s[10:11]
	v_cmp_lt_i64_e32 vcc, v[10:11], v[4:5]
	s_waitcnt lgkmcnt(0)
	s_and_saveexec_b64 s[10:11], vcc
	s_cbranch_execz .LBB2_33
; %bb.24:                               ;   in Loop: Header=BB2_13 Depth=1
	v_lshlrev_b64 v[16:17], 2, v[10:11]
	v_mov_b32_e32 v15, s7
	v_add_co_u32_e32 v14, vcc, s6, v16
	v_addc_co_u32_e32 v15, vcc, v15, v17, vcc
	v_mov_b32_e32 v32, s13
	v_add_co_u32_e32 v16, vcc, s12, v16
	v_addc_co_u32_e32 v17, vcc, v32, v17, vcc
	s_mov_b64 s[16:17], 0
	s_branch .LBB2_26
.LBB2_25:                               ;   in Loop: Header=BB2_26 Depth=2
	s_or_b64 exec, exec, s[0:1]
	s_and_b64 s[0:1], exec, s[18:19]
	s_or_b64 s[16:17], s[0:1], s[16:17]
	s_andn2_b64 exec, exec, s[16:17]
	s_cbranch_execz .LBB2_32
.LBB2_26:                               ;   Parent Loop BB2_13 Depth=1
                                        ; =>  This Inner Loop Header: Depth=2
	global_load_dword v32, v[14:15], off
	s_waitcnt vmcnt(0)
	v_subrev_u32_e32 v33, s9, v32
	v_sub_u32_e32 v32, v33, v12
	v_cmp_gt_u32_e32 vcc, 32, v32
	v_cmp_lt_u32_e64 s[0:1], 31, v32
	s_and_saveexec_b64 s[18:19], s[0:1]
	s_xor_b64 s[0:1], exec, s[18:19]
	s_cbranch_execnz .LBB2_29
; %bb.27:                               ;   in Loop: Header=BB2_26 Depth=2
	s_andn2_saveexec_b64 s[0:1], s[0:1]
	s_cbranch_execnz .LBB2_30
.LBB2_28:                               ;   in Loop: Header=BB2_26 Depth=2
	s_or_b64 exec, exec, s[0:1]
	s_mov_b64 s[18:19], -1
	s_and_saveexec_b64 s[0:1], vcc
	s_cbranch_execz .LBB2_25
	s_branch .LBB2_31
.LBB2_29:                               ;   in Loop: Header=BB2_26 Depth=2
	v_min_i32_e32 v13, v33, v13
                                        ; implicit-def: $vgpr32
	s_andn2_saveexec_b64 s[0:1], s[0:1]
	s_cbranch_execz .LBB2_28
.LBB2_30:                               ;   in Loop: Header=BB2_26 Depth=2
	global_load_dword v33, v[16:17], off
	v_lshl_add_u32 v34, v32, 2, v21
	ds_read_b32 v35, v34
	v_add_u32_e32 v32, v20, v32
	ds_write_b8 v32, v31
	s_waitcnt vmcnt(0) lgkmcnt(1)
	v_fmac_f32_e32 v35, v19, v33
	ds_write_b32 v34, v35
	s_or_b64 exec, exec, s[0:1]
	s_mov_b64 s[18:19], -1
	s_and_saveexec_b64 s[0:1], vcc
	s_cbranch_execz .LBB2_25
.LBB2_31:                               ;   in Loop: Header=BB2_26 Depth=2
	v_add_co_u32_e32 v10, vcc, 32, v10
	v_addc_co_u32_e32 v11, vcc, 0, v11, vcc
	v_add_co_u32_e32 v14, vcc, 0x80, v14
	v_addc_co_u32_e32 v15, vcc, 0, v15, vcc
	;; [unrolled: 2-line block ×3, first 2 shown]
	v_cmp_ge_i64_e32 vcc, v[10:11], v[4:5]
	s_orn2_b64 s[18:19], vcc, exec
	s_branch .LBB2_25
.LBB2_32:                               ;   in Loop: Header=BB2_13 Depth=1
	s_or_b64 exec, exec, s[16:17]
.LBB2_33:                               ;   in Loop: Header=BB2_13 Depth=1
	s_or_b64 exec, exec, s[10:11]
	s_waitcnt lgkmcnt(0)
	ds_read_u8 v14, v30
	s_waitcnt lgkmcnt(0)
	v_and_b32_e32 v15, 1, v14
	v_cmp_eq_u32_e64 s[0:1], 1, v15
	v_cmp_ne_u16_e32 vcc, 0, v14
	s_and_saveexec_b64 s[10:11], s[0:1]
	s_cbranch_execz .LBB2_12
; %bb.34:                               ;   in Loop: Header=BB2_13 Depth=1
	v_and_b32_e32 v14, vcc_lo, v23
	v_bcnt_u32_b32 v14, v14, 0
	v_add_co_u32_e64 v14, s[0:1], v6, v14
	v_addc_co_u32_e64 v15, s[0:1], 0, v1, s[0:1]
	v_lshlrev_b64 v[14:15], 2, v[14:15]
	v_mov_b32_e32 v17, s23
	v_add_co_u32_e64 v16, s[0:1], s22, v14
	v_add_u32_e32 v12, v24, v12
	v_addc_co_u32_e64 v17, s[0:1], v17, v15, s[0:1]
	global_store_dword v[16:17], v12, off
	ds_read_b32 v12, v22
	v_mov_b32_e32 v16, s25
	v_add_co_u32_e64 v14, s[0:1], s24, v14
	v_addc_co_u32_e64 v15, s[0:1], v16, v15, s[0:1]
	s_waitcnt lgkmcnt(0)
	global_store_dword v[14:15], v12, off
	s_branch .LBB2_12
.LBB2_35:
	s_endpgm
	.section	.rodata,"a",@progbits
	.p2align	6, 0x0
	.amdhsa_kernel _ZN9rocsparseL29csrgeam_fill_multipass_kernelILj256ELj32ElifEEvllNS_24const_host_device_scalarIT3_EEPKT1_PKT2_PKS2_S3_S6_S9_SB_S6_PS7_PS2_21rocsparse_index_base_SE_SE_bbb
		.amdhsa_group_segment_fixed_size 1280
		.amdhsa_private_segment_fixed_size 0
		.amdhsa_kernarg_size 120
		.amdhsa_user_sgpr_count 6
		.amdhsa_user_sgpr_private_segment_buffer 1
		.amdhsa_user_sgpr_dispatch_ptr 0
		.amdhsa_user_sgpr_queue_ptr 0
		.amdhsa_user_sgpr_kernarg_segment_ptr 1
		.amdhsa_user_sgpr_dispatch_id 0
		.amdhsa_user_sgpr_flat_scratch_init 0
		.amdhsa_user_sgpr_kernarg_preload_length 0
		.amdhsa_user_sgpr_kernarg_preload_offset 0
		.amdhsa_user_sgpr_private_segment_size 0
		.amdhsa_uses_dynamic_stack 0
		.amdhsa_system_sgpr_private_segment_wavefront_offset 0
		.amdhsa_system_sgpr_workgroup_id_x 1
		.amdhsa_system_sgpr_workgroup_id_y 0
		.amdhsa_system_sgpr_workgroup_id_z 0
		.amdhsa_system_sgpr_workgroup_info 0
		.amdhsa_system_vgpr_workitem_id 0
		.amdhsa_next_free_vgpr 36
		.amdhsa_next_free_sgpr 26
		.amdhsa_accum_offset 36
		.amdhsa_reserve_vcc 1
		.amdhsa_reserve_flat_scratch 0
		.amdhsa_float_round_mode_32 0
		.amdhsa_float_round_mode_16_64 0
		.amdhsa_float_denorm_mode_32 3
		.amdhsa_float_denorm_mode_16_64 3
		.amdhsa_dx10_clamp 1
		.amdhsa_ieee_mode 1
		.amdhsa_fp16_overflow 0
		.amdhsa_tg_split 0
		.amdhsa_exception_fp_ieee_invalid_op 0
		.amdhsa_exception_fp_denorm_src 0
		.amdhsa_exception_fp_ieee_div_zero 0
		.amdhsa_exception_fp_ieee_overflow 0
		.amdhsa_exception_fp_ieee_underflow 0
		.amdhsa_exception_fp_ieee_inexact 0
		.amdhsa_exception_int_div_zero 0
	.end_amdhsa_kernel
	.section	.text._ZN9rocsparseL29csrgeam_fill_multipass_kernelILj256ELj32ElifEEvllNS_24const_host_device_scalarIT3_EEPKT1_PKT2_PKS2_S3_S6_S9_SB_S6_PS7_PS2_21rocsparse_index_base_SE_SE_bbb,"axG",@progbits,_ZN9rocsparseL29csrgeam_fill_multipass_kernelILj256ELj32ElifEEvllNS_24const_host_device_scalarIT3_EEPKT1_PKT2_PKS2_S3_S6_S9_SB_S6_PS7_PS2_21rocsparse_index_base_SE_SE_bbb,comdat
.Lfunc_end2:
	.size	_ZN9rocsparseL29csrgeam_fill_multipass_kernelILj256ELj32ElifEEvllNS_24const_host_device_scalarIT3_EEPKT1_PKT2_PKS2_S3_S6_S9_SB_S6_PS7_PS2_21rocsparse_index_base_SE_SE_bbb, .Lfunc_end2-_ZN9rocsparseL29csrgeam_fill_multipass_kernelILj256ELj32ElifEEvllNS_24const_host_device_scalarIT3_EEPKT1_PKT2_PKS2_S3_S6_S9_SB_S6_PS7_PS2_21rocsparse_index_base_SE_SE_bbb
                                        ; -- End function
	.section	.AMDGPU.csdata,"",@progbits
; Kernel info:
; codeLenInByte = 1572
; NumSgprs: 30
; NumVgprs: 36
; NumAgprs: 0
; TotalNumVgprs: 36
; ScratchSize: 0
; MemoryBound: 0
; FloatMode: 240
; IeeeMode: 1
; LDSByteSize: 1280 bytes/workgroup (compile time only)
; SGPRBlocks: 3
; VGPRBlocks: 4
; NumSGPRsForWavesPerEU: 30
; NumVGPRsForWavesPerEU: 36
; AccumOffset: 36
; Occupancy: 8
; WaveLimiterHint : 1
; COMPUTE_PGM_RSRC2:SCRATCH_EN: 0
; COMPUTE_PGM_RSRC2:USER_SGPR: 6
; COMPUTE_PGM_RSRC2:TRAP_HANDLER: 0
; COMPUTE_PGM_RSRC2:TGID_X_EN: 1
; COMPUTE_PGM_RSRC2:TGID_Y_EN: 0
; COMPUTE_PGM_RSRC2:TGID_Z_EN: 0
; COMPUTE_PGM_RSRC2:TIDIG_COMP_CNT: 0
; COMPUTE_PGM_RSRC3_GFX90A:ACCUM_OFFSET: 8
; COMPUTE_PGM_RSRC3_GFX90A:TG_SPLIT: 0
	.section	.text._ZN9rocsparseL29csrgeam_fill_multipass_kernelILj256ELj64ElifEEvllNS_24const_host_device_scalarIT3_EEPKT1_PKT2_PKS2_S3_S6_S9_SB_S6_PS7_PS2_21rocsparse_index_base_SE_SE_bbb,"axG",@progbits,_ZN9rocsparseL29csrgeam_fill_multipass_kernelILj256ELj64ElifEEvllNS_24const_host_device_scalarIT3_EEPKT1_PKT2_PKS2_S3_S6_S9_SB_S6_PS7_PS2_21rocsparse_index_base_SE_SE_bbb,comdat
	.globl	_ZN9rocsparseL29csrgeam_fill_multipass_kernelILj256ELj64ElifEEvllNS_24const_host_device_scalarIT3_EEPKT1_PKT2_PKS2_S3_S6_S9_SB_S6_PS7_PS2_21rocsparse_index_base_SE_SE_bbb ; -- Begin function _ZN9rocsparseL29csrgeam_fill_multipass_kernelILj256ELj64ElifEEvllNS_24const_host_device_scalarIT3_EEPKT1_PKT2_PKS2_S3_S6_S9_SB_S6_PS7_PS2_21rocsparse_index_base_SE_SE_bbb
	.p2align	8
	.type	_ZN9rocsparseL29csrgeam_fill_multipass_kernelILj256ELj64ElifEEvllNS_24const_host_device_scalarIT3_EEPKT1_PKT2_PKS2_S3_S6_S9_SB_S6_PS7_PS2_21rocsparse_index_base_SE_SE_bbb,@function
_ZN9rocsparseL29csrgeam_fill_multipass_kernelILj256ELj64ElifEEvllNS_24const_host_device_scalarIT3_EEPKT1_PKT2_PKS2_S3_S6_S9_SB_S6_PS7_PS2_21rocsparse_index_base_SE_SE_bbb: ; @_ZN9rocsparseL29csrgeam_fill_multipass_kernelILj256ELj64ElifEEvllNS_24const_host_device_scalarIT3_EEPKT1_PKT2_PKS2_S3_S6_S9_SB_S6_PS7_PS2_21rocsparse_index_base_SE_SE_bbb
; %bb.0:
	s_load_dwordx4 s[8:11], s[4:5], 0x68
	s_load_dwordx2 s[2:3], s[4:5], 0x30
	s_load_dword s7, s[4:5], 0x74
	s_load_dwordx4 s[12:15], s[4:5], 0x0
	s_load_dwordx2 s[18:19], s[4:5], 0x10
	s_waitcnt lgkmcnt(0)
	s_bitcmp1_b32 s11, 0
	s_cselect_b64 s[0:1], -1, 0
	s_bitcmp1_b32 s7, 16
	s_cselect_b64 s[16:17], -1, 0
	s_xor_b64 s[20:21], s[0:1], -1
	s_or_b64 s[20:21], s[20:21], s[16:17]
	s_and_b64 vcc, exec, s[20:21]
	s_cbranch_vccnz .LBB3_2
; %bb.1:
	s_load_dword s0, s[18:19], 0x0
	s_waitcnt lgkmcnt(0)
	v_mov_b32_e32 v20, s0
	s_branch .LBB3_3
.LBB3_2:
	v_mov_b32_e32 v1, s18
	v_cndmask_b32_e64 v20, 0, v1, s[0:1]
.LBB3_3:
	s_bitcmp1_b32 s7, 8
	s_cselect_b64 s[0:1], -1, 0
	s_xor_b64 s[18:19], s[0:1], -1
	s_or_b64 s[16:17], s[18:19], s[16:17]
	s_and_b64 vcc, exec, s[16:17]
	s_cbranch_vccnz .LBB3_5
; %bb.4:
	s_load_dword s0, s[2:3], 0x0
	s_waitcnt lgkmcnt(0)
	v_mov_b32_e32 v21, s0
	s_branch .LBB3_6
.LBB3_5:
	v_mov_b32_e32 v1, s2
	v_cndmask_b32_e64 v21, 0, v1, s[0:1]
.LBB3_6:
	s_lshl_b32 s0, s6, 2
	v_lshrrev_b32_e32 v1, 6, v0
	s_and_b32 s0, s0, 0x3fffffc
	v_or_b32_e32 v2, s0, v1
	v_mov_b32_e32 v3, 0
	v_cmp_gt_i64_e32 vcc, s[12:13], v[2:3]
	s_and_saveexec_b64 s[0:1], vcc
	s_cbranch_execz .LBB3_35
; %bb.7:
	s_load_dwordx4 s[0:3], s[4:5], 0x18
	s_load_dwordx2 s[6:7], s[4:5], 0x50
	s_load_dwordx2 s[12:13], s[4:5], 0x38
	v_lshlrev_b32_e32 v1, 3, v2
	s_mov_b32 s22, 0
	s_mov_b32 s11, s8
	s_waitcnt lgkmcnt(0)
	global_load_dwordx4 v[2:5], v1, s[0:1]
	global_load_dwordx4 v[6:9], v1, s[12:13]
	global_load_dwordx2 v[12:13], v1, s[6:7]
	s_waitcnt vmcnt(2)
	v_subrev_co_u32_e32 v10, vcc, s8, v2
	v_subbrev_co_u32_e32 v11, vcc, 0, v3, vcc
	v_cmp_ge_i64_e32 vcc, v[2:3], v[4:5]
	s_and_saveexec_b64 s[0:1], vcc
	s_xor_b64 s[0:1], exec, s[0:1]
	s_or_saveexec_b64 s[0:1], s[0:1]
	v_mov_b32_e32 v14, s14
	s_xor_b64 exec, exec, s[0:1]
	s_cbranch_execz .LBB3_9
; %bb.8:
	v_lshlrev_b64 v[2:3], 2, v[10:11]
	v_mov_b32_e32 v1, s3
	v_add_co_u32_e32 v2, vcc, s2, v2
	v_addc_co_u32_e32 v3, vcc, v1, v3, vcc
	global_load_dword v1, v[2:3], off
	s_waitcnt vmcnt(0)
	v_subrev_u32_e32 v14, s8, v1
.LBB3_9:
	s_or_b64 exec, exec, s[0:1]
	s_load_dwordx4 s[16:19], s[4:5], 0x58
	s_load_dwordx2 s[6:7], s[4:5], 0x40
	s_waitcnt vmcnt(1)
	v_subrev_co_u32_e32 v16, vcc, s9, v6
	v_subbrev_co_u32_e32 v17, vcc, 0, v7, vcc
	s_mov_b32 s23, 0
	s_mov_b32 s24, s9
	v_cmp_ge_i64_e32 vcc, v[6:7], v[8:9]
	s_and_saveexec_b64 s[0:1], vcc
	s_xor_b64 s[0:1], exec, s[0:1]
	s_or_saveexec_b64 s[0:1], s[0:1]
	s_load_dwordx2 s[12:13], s[4:5], 0x48
	s_load_dwordx2 s[20:21], s[4:5], 0x28
	v_mov_b32_e32 v7, s14
	v_mov_b32_e32 v15, s14
	s_xor_b64 exec, exec, s[0:1]
	s_cbranch_execz .LBB3_11
; %bb.10:
	v_lshlrev_b64 v[2:3], 2, v[16:17]
	s_waitcnt lgkmcnt(0)
	v_mov_b32_e32 v1, s7
	v_add_co_u32_e32 v2, vcc, s6, v2
	v_addc_co_u32_e32 v3, vcc, v1, v3, vcc
	global_load_dword v1, v[2:3], off
	v_mov_b32_e32 v7, s14
	s_waitcnt vmcnt(0)
	v_subrev_u32_e32 v15, s9, v1
.LBB3_11:
	s_or_b64 exec, exec, s[0:1]
	v_and_b32_e32 v1, 0xc0, v0
	v_or_b32_e32 v22, 0x400, v1
	v_lshlrev_b32_e32 v23, 2, v1
	v_mov_b32_e32 v1, s22
	v_subrev_co_u32_e32 v2, vcc, s11, v4
	v_subb_co_u32_e32 v3, vcc, v5, v1, vcc
	v_mov_b32_e32 v1, s23
	v_subrev_co_u32_e32 v4, vcc, s24, v8
	v_subb_co_u32_e32 v5, vcc, v9, v1, vcc
	s_waitcnt vmcnt(0)
	v_subrev_co_u32_e32 v6, vcc, s10, v12
	v_subbrev_co_u32_e32 v1, vcc, 0, v13, vcc
	v_and_b32_e32 v18, 63, v0
	v_add_co_u32_e32 v8, vcc, v10, v18
	v_mbcnt_lo_u32_b32 v12, -1, 0
	v_min_i32_e32 v14, v15, v14
	v_addc_co_u32_e32 v9, vcc, 0, v11, vcc
	v_mbcnt_hi_u32_b32 v15, -1, v12
	v_add_co_u32_e32 v10, vcc, v16, v18
	v_and_b32_e32 v12, 64, v15
	v_addc_co_u32_e32 v11, vcc, 0, v17, vcc
	v_add_u32_e32 v16, 64, v12
	v_xor_b32_e32 v17, 32, v15
	v_cmp_lt_i32_e32 vcc, v17, v16
	v_cndmask_b32_e32 v17, v15, v17, vcc
	v_lshlrev_b32_e32 v26, 2, v17
	v_xor_b32_e32 v17, 16, v15
	v_cmp_lt_i32_e32 vcc, v17, v16
	v_cndmask_b32_e32 v17, v15, v17, vcc
	v_lshlrev_b32_e32 v27, 2, v17
	;; [unrolled: 4-line block ×5, first 2 shown]
	v_xor_b32_e32 v17, 1, v15
	s_waitcnt lgkmcnt(0)
	s_add_u32 s22, s16, -4
	v_cmp_lt_i32_e32 vcc, v17, v16
	s_addc_u32 s23, s17, -1
	v_xor_b32_e32 v12, 63, v18
	v_cndmask_b32_e32 v15, v15, v17, vcc
	s_add_u32 s24, s18, -4
	v_mov_b32_e32 v0, 0
	v_lshl_or_b32 v24, v18, 2, v23
	v_lshrrev_b64 v[12:13], v12, -1
	v_add_u32_e32 v25, s10, v18
	v_lshlrev_b32_e32 v31, 2, v15
	s_addc_u32 s25, s19, -1
	s_mov_b64 s[4:5], 0
	v_add_u32_e32 v32, v22, v18
	v_mov_b32_e32 v33, 1
	s_branch .LBB3_13
.LBB3_12:                               ;   in Loop: Header=BB3_13 Depth=1
	s_or_b64 exec, exec, s[10:11]
	ds_bpermute_b32 v14, v26, v15
	s_bcnt1_i32_b64 s0, vcc
	s_waitcnt lgkmcnt(0)
	v_min_i32_e32 v14, v14, v15
	ds_bpermute_b32 v15, v27, v14
	s_waitcnt lgkmcnt(0)
	v_min_i32_e32 v14, v15, v14
	ds_bpermute_b32 v15, v28, v14
	;; [unrolled: 3-line block ×5, first 2 shown]
	s_waitcnt lgkmcnt(0)
	v_min_i32_e32 v14, v15, v14
	v_ashrrev_i32_e32 v15, 31, v14
	v_cmp_le_i64_e32 vcc, s[14:15], v[14:15]
	s_or_b64 s[4:5], vcc, s[4:5]
	v_add_co_u32_e32 v6, vcc, s0, v6
	v_addc_co_u32_e32 v1, vcc, 0, v1, vcc
	s_andn2_b64 exec, exec, s[4:5]
	s_cbranch_execz .LBB3_35
.LBB3_13:                               ; =>This Loop Header: Depth=1
                                        ;     Child Loop BB3_16 Depth 2
                                        ;     Child Loop BB3_26 Depth 2
	v_cmp_lt_i64_e32 vcc, v[8:9], v[2:3]
	v_mov_b32_e32 v15, v7
	ds_write_b8 v32, v0
	ds_write_b32 v24, v0
	s_waitcnt lgkmcnt(0)
	s_and_saveexec_b64 s[10:11], vcc
	s_cbranch_execz .LBB3_23
; %bb.14:                               ;   in Loop: Header=BB3_13 Depth=1
	v_lshlrev_b64 v[18:19], 2, v[8:9]
	v_mov_b32_e32 v15, s3
	v_add_co_u32_e32 v16, vcc, s2, v18
	v_addc_co_u32_e32 v17, vcc, v15, v19, vcc
	v_mov_b32_e32 v15, s21
	v_add_co_u32_e32 v18, vcc, s20, v18
	v_addc_co_u32_e32 v19, vcc, v15, v19, vcc
	s_mov_b64 s[16:17], 0
	v_mov_b32_e32 v15, v7
	s_branch .LBB3_16
.LBB3_15:                               ;   in Loop: Header=BB3_16 Depth=2
	s_or_b64 exec, exec, s[0:1]
	s_and_b64 s[0:1], exec, s[18:19]
	s_or_b64 s[16:17], s[0:1], s[16:17]
	s_andn2_b64 exec, exec, s[16:17]
	s_cbranch_execz .LBB3_22
.LBB3_16:                               ;   Parent Loop BB3_13 Depth=1
                                        ; =>  This Inner Loop Header: Depth=2
	global_load_dword v34, v[16:17], off
	s_waitcnt vmcnt(0)
	v_subrev_u32_e32 v35, s8, v34
	v_sub_u32_e32 v34, v35, v14
	v_cmp_gt_u32_e32 vcc, 64, v34
	v_cmp_lt_u32_e64 s[0:1], 63, v34
	s_and_saveexec_b64 s[18:19], s[0:1]
	s_xor_b64 s[0:1], exec, s[18:19]
	s_cbranch_execnz .LBB3_19
; %bb.17:                               ;   in Loop: Header=BB3_16 Depth=2
	s_andn2_saveexec_b64 s[0:1], s[0:1]
	s_cbranch_execnz .LBB3_20
.LBB3_18:                               ;   in Loop: Header=BB3_16 Depth=2
	s_or_b64 exec, exec, s[0:1]
	s_mov_b64 s[18:19], -1
	s_and_saveexec_b64 s[0:1], vcc
	s_cbranch_execz .LBB3_15
	s_branch .LBB3_21
.LBB3_19:                               ;   in Loop: Header=BB3_16 Depth=2
	v_min_i32_e32 v15, v35, v15
                                        ; implicit-def: $vgpr34
	s_andn2_saveexec_b64 s[0:1], s[0:1]
	s_cbranch_execz .LBB3_18
.LBB3_20:                               ;   in Loop: Header=BB3_16 Depth=2
	global_load_dword v35, v[18:19], off
	v_add_u32_e32 v36, v22, v34
	v_lshl_add_u32 v34, v34, 2, v23
	ds_write_b8 v36, v33
	s_waitcnt vmcnt(0)
	v_mul_f32_e32 v35, v20, v35
	ds_write_b32 v34, v35
	s_or_b64 exec, exec, s[0:1]
	s_mov_b64 s[18:19], -1
	s_and_saveexec_b64 s[0:1], vcc
	s_cbranch_execz .LBB3_15
.LBB3_21:                               ;   in Loop: Header=BB3_16 Depth=2
	v_add_co_u32_e32 v8, vcc, 64, v8
	v_addc_co_u32_e32 v9, vcc, 0, v9, vcc
	v_add_co_u32_e32 v16, vcc, 0x100, v16
	v_addc_co_u32_e32 v17, vcc, 0, v17, vcc
	v_add_co_u32_e32 v18, vcc, 0x100, v18
	v_addc_co_u32_e32 v19, vcc, 0, v19, vcc
	v_cmp_ge_i64_e32 vcc, v[8:9], v[2:3]
	s_orn2_b64 s[18:19], vcc, exec
	s_branch .LBB3_15
.LBB3_22:                               ;   in Loop: Header=BB3_13 Depth=1
	s_or_b64 exec, exec, s[16:17]
.LBB3_23:                               ;   in Loop: Header=BB3_13 Depth=1
	s_or_b64 exec, exec, s[10:11]
	v_cmp_lt_i64_e32 vcc, v[10:11], v[4:5]
	s_waitcnt lgkmcnt(0)
	s_and_saveexec_b64 s[10:11], vcc
	s_cbranch_execz .LBB3_33
; %bb.24:                               ;   in Loop: Header=BB3_13 Depth=1
	v_lshlrev_b64 v[18:19], 2, v[10:11]
	v_mov_b32_e32 v17, s7
	v_add_co_u32_e32 v16, vcc, s6, v18
	v_addc_co_u32_e32 v17, vcc, v17, v19, vcc
	v_mov_b32_e32 v34, s13
	v_add_co_u32_e32 v18, vcc, s12, v18
	v_addc_co_u32_e32 v19, vcc, v34, v19, vcc
	s_mov_b64 s[16:17], 0
	s_branch .LBB3_26
.LBB3_25:                               ;   in Loop: Header=BB3_26 Depth=2
	s_or_b64 exec, exec, s[0:1]
	s_and_b64 s[0:1], exec, s[18:19]
	s_or_b64 s[16:17], s[0:1], s[16:17]
	s_andn2_b64 exec, exec, s[16:17]
	s_cbranch_execz .LBB3_32
.LBB3_26:                               ;   Parent Loop BB3_13 Depth=1
                                        ; =>  This Inner Loop Header: Depth=2
	global_load_dword v34, v[16:17], off
	s_waitcnt vmcnt(0)
	v_subrev_u32_e32 v35, s9, v34
	v_sub_u32_e32 v34, v35, v14
	v_cmp_gt_u32_e32 vcc, 64, v34
	v_cmp_lt_u32_e64 s[0:1], 63, v34
	s_and_saveexec_b64 s[18:19], s[0:1]
	s_xor_b64 s[0:1], exec, s[18:19]
	s_cbranch_execnz .LBB3_29
; %bb.27:                               ;   in Loop: Header=BB3_26 Depth=2
	s_andn2_saveexec_b64 s[0:1], s[0:1]
	s_cbranch_execnz .LBB3_30
.LBB3_28:                               ;   in Loop: Header=BB3_26 Depth=2
	s_or_b64 exec, exec, s[0:1]
	s_mov_b64 s[18:19], -1
	s_and_saveexec_b64 s[0:1], vcc
	s_cbranch_execz .LBB3_25
	s_branch .LBB3_31
.LBB3_29:                               ;   in Loop: Header=BB3_26 Depth=2
	v_min_i32_e32 v15, v35, v15
                                        ; implicit-def: $vgpr34
	s_andn2_saveexec_b64 s[0:1], s[0:1]
	s_cbranch_execz .LBB3_28
.LBB3_30:                               ;   in Loop: Header=BB3_26 Depth=2
	global_load_dword v35, v[18:19], off
	v_lshl_add_u32 v36, v34, 2, v23
	ds_read_b32 v37, v36
	v_add_u32_e32 v34, v22, v34
	ds_write_b8 v34, v33
	s_waitcnt vmcnt(0) lgkmcnt(1)
	v_fmac_f32_e32 v37, v21, v35
	ds_write_b32 v36, v37
	s_or_b64 exec, exec, s[0:1]
	s_mov_b64 s[18:19], -1
	s_and_saveexec_b64 s[0:1], vcc
	s_cbranch_execz .LBB3_25
.LBB3_31:                               ;   in Loop: Header=BB3_26 Depth=2
	v_add_co_u32_e32 v10, vcc, 64, v10
	v_addc_co_u32_e32 v11, vcc, 0, v11, vcc
	v_add_co_u32_e32 v16, vcc, 0x100, v16
	v_addc_co_u32_e32 v17, vcc, 0, v17, vcc
	;; [unrolled: 2-line block ×3, first 2 shown]
	v_cmp_ge_i64_e32 vcc, v[10:11], v[4:5]
	s_orn2_b64 s[18:19], vcc, exec
	s_branch .LBB3_25
.LBB3_32:                               ;   in Loop: Header=BB3_13 Depth=1
	s_or_b64 exec, exec, s[16:17]
.LBB3_33:                               ;   in Loop: Header=BB3_13 Depth=1
	s_or_b64 exec, exec, s[10:11]
	s_waitcnt lgkmcnt(0)
	ds_read_u8 v16, v32
	s_waitcnt lgkmcnt(0)
	v_and_b32_e32 v17, 1, v16
	v_cmp_eq_u32_e64 s[0:1], 1, v17
	v_cmp_ne_u16_e32 vcc, 0, v16
	s_and_saveexec_b64 s[10:11], s[0:1]
	s_cbranch_execz .LBB3_12
; %bb.34:                               ;   in Loop: Header=BB3_13 Depth=1
	v_and_b32_e32 v17, vcc_lo, v12
	v_and_b32_e32 v16, vcc_hi, v13
	v_bcnt_u32_b32 v17, v17, 0
	v_bcnt_u32_b32 v16, v16, v17
	v_add_co_u32_e64 v16, s[0:1], v6, v16
	v_addc_co_u32_e64 v17, s[0:1], 0, v1, s[0:1]
	v_lshlrev_b64 v[16:17], 2, v[16:17]
	v_mov_b32_e32 v19, s23
	v_add_co_u32_e64 v18, s[0:1], s22, v16
	v_add_u32_e32 v14, v25, v14
	v_addc_co_u32_e64 v19, s[0:1], v19, v17, s[0:1]
	global_store_dword v[18:19], v14, off
	ds_read_b32 v14, v24
	v_mov_b32_e32 v18, s25
	v_add_co_u32_e64 v16, s[0:1], s24, v16
	v_addc_co_u32_e64 v17, s[0:1], v18, v17, s[0:1]
	s_waitcnt lgkmcnt(0)
	global_store_dword v[16:17], v14, off
	s_branch .LBB3_12
.LBB3_35:
	s_endpgm
	.section	.rodata,"a",@progbits
	.p2align	6, 0x0
	.amdhsa_kernel _ZN9rocsparseL29csrgeam_fill_multipass_kernelILj256ELj64ElifEEvllNS_24const_host_device_scalarIT3_EEPKT1_PKT2_PKS2_S3_S6_S9_SB_S6_PS7_PS2_21rocsparse_index_base_SE_SE_bbb
		.amdhsa_group_segment_fixed_size 1280
		.amdhsa_private_segment_fixed_size 0
		.amdhsa_kernarg_size 120
		.amdhsa_user_sgpr_count 6
		.amdhsa_user_sgpr_private_segment_buffer 1
		.amdhsa_user_sgpr_dispatch_ptr 0
		.amdhsa_user_sgpr_queue_ptr 0
		.amdhsa_user_sgpr_kernarg_segment_ptr 1
		.amdhsa_user_sgpr_dispatch_id 0
		.amdhsa_user_sgpr_flat_scratch_init 0
		.amdhsa_user_sgpr_kernarg_preload_length 0
		.amdhsa_user_sgpr_kernarg_preload_offset 0
		.amdhsa_user_sgpr_private_segment_size 0
		.amdhsa_uses_dynamic_stack 0
		.amdhsa_system_sgpr_private_segment_wavefront_offset 0
		.amdhsa_system_sgpr_workgroup_id_x 1
		.amdhsa_system_sgpr_workgroup_id_y 0
		.amdhsa_system_sgpr_workgroup_id_z 0
		.amdhsa_system_sgpr_workgroup_info 0
		.amdhsa_system_vgpr_workitem_id 0
		.amdhsa_next_free_vgpr 38
		.amdhsa_next_free_sgpr 26
		.amdhsa_accum_offset 40
		.amdhsa_reserve_vcc 1
		.amdhsa_reserve_flat_scratch 0
		.amdhsa_float_round_mode_32 0
		.amdhsa_float_round_mode_16_64 0
		.amdhsa_float_denorm_mode_32 3
		.amdhsa_float_denorm_mode_16_64 3
		.amdhsa_dx10_clamp 1
		.amdhsa_ieee_mode 1
		.amdhsa_fp16_overflow 0
		.amdhsa_tg_split 0
		.amdhsa_exception_fp_ieee_invalid_op 0
		.amdhsa_exception_fp_denorm_src 0
		.amdhsa_exception_fp_ieee_div_zero 0
		.amdhsa_exception_fp_ieee_overflow 0
		.amdhsa_exception_fp_ieee_underflow 0
		.amdhsa_exception_fp_ieee_inexact 0
		.amdhsa_exception_int_div_zero 0
	.end_amdhsa_kernel
	.section	.text._ZN9rocsparseL29csrgeam_fill_multipass_kernelILj256ELj64ElifEEvllNS_24const_host_device_scalarIT3_EEPKT1_PKT2_PKS2_S3_S6_S9_SB_S6_PS7_PS2_21rocsparse_index_base_SE_SE_bbb,"axG",@progbits,_ZN9rocsparseL29csrgeam_fill_multipass_kernelILj256ELj64ElifEEvllNS_24const_host_device_scalarIT3_EEPKT1_PKT2_PKS2_S3_S6_S9_SB_S6_PS7_PS2_21rocsparse_index_base_SE_SE_bbb,comdat
.Lfunc_end3:
	.size	_ZN9rocsparseL29csrgeam_fill_multipass_kernelILj256ELj64ElifEEvllNS_24const_host_device_scalarIT3_EEPKT1_PKT2_PKS2_S3_S6_S9_SB_S6_PS7_PS2_21rocsparse_index_base_SE_SE_bbb, .Lfunc_end3-_ZN9rocsparseL29csrgeam_fill_multipass_kernelILj256ELj64ElifEEvllNS_24const_host_device_scalarIT3_EEPKT1_PKT2_PKS2_S3_S6_S9_SB_S6_PS7_PS2_21rocsparse_index_base_SE_SE_bbb
                                        ; -- End function
	.section	.AMDGPU.csdata,"",@progbits
; Kernel info:
; codeLenInByte = 1616
; NumSgprs: 30
; NumVgprs: 38
; NumAgprs: 0
; TotalNumVgprs: 38
; ScratchSize: 0
; MemoryBound: 0
; FloatMode: 240
; IeeeMode: 1
; LDSByteSize: 1280 bytes/workgroup (compile time only)
; SGPRBlocks: 3
; VGPRBlocks: 4
; NumSGPRsForWavesPerEU: 30
; NumVGPRsForWavesPerEU: 38
; AccumOffset: 40
; Occupancy: 8
; WaveLimiterHint : 1
; COMPUTE_PGM_RSRC2:SCRATCH_EN: 0
; COMPUTE_PGM_RSRC2:USER_SGPR: 6
; COMPUTE_PGM_RSRC2:TRAP_HANDLER: 0
; COMPUTE_PGM_RSRC2:TGID_X_EN: 1
; COMPUTE_PGM_RSRC2:TGID_Y_EN: 0
; COMPUTE_PGM_RSRC2:TGID_Z_EN: 0
; COMPUTE_PGM_RSRC2:TIDIG_COMP_CNT: 0
; COMPUTE_PGM_RSRC3_GFX90A:ACCUM_OFFSET: 9
; COMPUTE_PGM_RSRC3_GFX90A:TG_SPLIT: 0
	.section	.text._ZN9rocsparseL29csrgeam_fill_multipass_kernelILj256ELj32EllfEEvllNS_24const_host_device_scalarIT3_EEPKT1_PKT2_PKS2_S3_S6_S9_SB_S6_PS7_PS2_21rocsparse_index_base_SE_SE_bbb,"axG",@progbits,_ZN9rocsparseL29csrgeam_fill_multipass_kernelILj256ELj32EllfEEvllNS_24const_host_device_scalarIT3_EEPKT1_PKT2_PKS2_S3_S6_S9_SB_S6_PS7_PS2_21rocsparse_index_base_SE_SE_bbb,comdat
	.globl	_ZN9rocsparseL29csrgeam_fill_multipass_kernelILj256ELj32EllfEEvllNS_24const_host_device_scalarIT3_EEPKT1_PKT2_PKS2_S3_S6_S9_SB_S6_PS7_PS2_21rocsparse_index_base_SE_SE_bbb ; -- Begin function _ZN9rocsparseL29csrgeam_fill_multipass_kernelILj256ELj32EllfEEvllNS_24const_host_device_scalarIT3_EEPKT1_PKT2_PKS2_S3_S6_S9_SB_S6_PS7_PS2_21rocsparse_index_base_SE_SE_bbb
	.p2align	8
	.type	_ZN9rocsparseL29csrgeam_fill_multipass_kernelILj256ELj32EllfEEvllNS_24const_host_device_scalarIT3_EEPKT1_PKT2_PKS2_S3_S6_S9_SB_S6_PS7_PS2_21rocsparse_index_base_SE_SE_bbb,@function
_ZN9rocsparseL29csrgeam_fill_multipass_kernelILj256ELj32EllfEEvllNS_24const_host_device_scalarIT3_EEPKT1_PKT2_PKS2_S3_S6_S9_SB_S6_PS7_PS2_21rocsparse_index_base_SE_SE_bbb: ; @_ZN9rocsparseL29csrgeam_fill_multipass_kernelILj256ELj32EllfEEvllNS_24const_host_device_scalarIT3_EEPKT1_PKT2_PKS2_S3_S6_S9_SB_S6_PS7_PS2_21rocsparse_index_base_SE_SE_bbb
; %bb.0:
	s_load_dwordx4 s[16:19], s[4:5], 0x68
	s_load_dwordx2 s[2:3], s[4:5], 0x30
	s_load_dword s7, s[4:5], 0x74
	s_load_dwordx4 s[8:11], s[4:5], 0x0
	s_load_dwordx2 s[14:15], s[4:5], 0x10
	s_waitcnt lgkmcnt(0)
	s_bitcmp1_b32 s19, 0
	s_cselect_b64 s[0:1], -1, 0
	s_bitcmp1_b32 s7, 16
	s_cselect_b64 s[12:13], -1, 0
	s_xor_b64 s[20:21], s[0:1], -1
	s_or_b64 s[20:21], s[20:21], s[12:13]
	s_and_b64 vcc, exec, s[20:21]
	s_cbranch_vccnz .LBB4_2
; %bb.1:
	s_load_dword s0, s[14:15], 0x0
	s_waitcnt lgkmcnt(0)
	v_mov_b32_e32 v24, s0
	s_branch .LBB4_3
.LBB4_2:
	v_mov_b32_e32 v1, s14
	v_cndmask_b32_e64 v24, 0, v1, s[0:1]
.LBB4_3:
	s_bitcmp1_b32 s7, 8
	s_cselect_b64 s[0:1], -1, 0
	s_xor_b64 s[14:15], s[0:1], -1
	s_or_b64 s[12:13], s[14:15], s[12:13]
	s_and_b64 vcc, exec, s[12:13]
	s_cbranch_vccnz .LBB4_5
; %bb.4:
	s_load_dword s0, s[2:3], 0x0
	s_waitcnt lgkmcnt(0)
	v_mov_b32_e32 v25, s0
	s_branch .LBB4_6
.LBB4_5:
	v_mov_b32_e32 v1, s2
	v_cndmask_b32_e64 v25, 0, v1, s[0:1]
.LBB4_6:
	s_lshl_b32 s0, s6, 3
	v_lshrrev_b32_e32 v1, 5, v0
	s_and_b32 s0, s0, 0x7fffff8
	v_or_b32_e32 v2, s0, v1
	v_mov_b32_e32 v3, 0
	v_cmp_gt_i64_e32 vcc, s[8:9], v[2:3]
	s_and_saveexec_b64 s[0:1], vcc
	s_cbranch_execz .LBB4_35
; %bb.7:
	s_load_dwordx4 s[0:3], s[4:5], 0x18
	s_load_dwordx4 s[12:15], s[4:5], 0x38
	;; [unrolled: 1-line block ×3, first 2 shown]
	v_lshlrev_b32_e32 v1, 3, v2
	v_pk_mov_b32 v[14:15], s[10:11], s[10:11] op_sel:[0,1]
	s_waitcnt lgkmcnt(0)
	global_load_dwordx4 v[2:5], v1, s[0:1]
	global_load_dwordx4 v[6:9], v1, s[12:13]
	global_load_dwordx2 v[12:13], v1, s[20:21]
	s_load_dwordx2 s[0:1], s[4:5], 0x60
	s_mov_b32 s20, 0
	s_mov_b32 s21, s16
	;; [unrolled: 1-line block ×3, first 2 shown]
	s_waitcnt vmcnt(2)
	v_subrev_co_u32_e32 v10, vcc, s16, v2
	v_subbrev_co_u32_e32 v11, vcc, 0, v3, vcc
	v_cmp_lt_i64_e32 vcc, v[2:3], v[4:5]
	s_and_saveexec_b64 s[6:7], vcc
	s_cbranch_execz .LBB4_9
; %bb.8:
	v_lshlrev_b64 v[2:3], 3, v[10:11]
	v_mov_b32_e32 v1, s3
	v_add_co_u32_e32 v2, vcc, s2, v2
	v_addc_co_u32_e32 v3, vcc, v1, v3, vcc
	global_load_dwordx2 v[2:3], v[2:3], off
	v_mov_b32_e32 v1, s24
	s_waitcnt vmcnt(0)
	v_subrev_co_u32_e32 v14, vcc, s21, v2
	v_subb_co_u32_e32 v15, vcc, v3, v1, vcc
.LBB4_9:
	s_or_b64 exec, exec, s[6:7]
	s_load_dwordx2 s[6:7], s[4:5], 0x48
	s_load_dwordx2 s[8:9], s[4:5], 0x28
	s_waitcnt vmcnt(1)
	v_subrev_co_u32_e32 v16, vcc, s17, v6
	v_subbrev_co_u32_e32 v17, vcc, 0, v7, vcc
	s_mov_b32 s25, s17
	v_cmp_lt_i64_e32 vcc, v[6:7], v[8:9]
	v_pk_mov_b32 v[18:19], s[10:11], s[10:11] op_sel:[0,1]
	s_and_saveexec_b64 s[4:5], vcc
	s_cbranch_execz .LBB4_11
; %bb.10:
	v_lshlrev_b64 v[2:3], 3, v[16:17]
	v_mov_b32_e32 v1, s15
	v_add_co_u32_e32 v2, vcc, s14, v2
	v_addc_co_u32_e32 v3, vcc, v1, v3, vcc
	global_load_dwordx2 v[2:3], v[2:3], off
	v_mov_b32_e32 v1, s20
	s_waitcnt vmcnt(0)
	v_subrev_co_u32_e32 v18, vcc, s25, v2
	v_subb_co_u32_e32 v19, vcc, v3, v1, vcc
.LBB4_11:
	s_or_b64 exec, exec, s[4:5]
	v_and_b32_e32 v1, 0xe0, v0
	v_or_b32_e32 v7, 0x400, v1
	v_lshlrev_b32_e32 v26, 2, v1
	v_mov_b32_e32 v1, s24
	v_subrev_co_u32_e32 v2, vcc, s21, v4
	v_subb_co_u32_e32 v3, vcc, v5, v1, vcc
	v_mov_b32_e32 v1, s20
	v_subrev_co_u32_e32 v4, vcc, s25, v8
	v_subb_co_u32_e32 v5, vcc, v9, v1, vcc
	s_waitcnt vmcnt(0)
	v_subrev_co_u32_e32 v6, vcc, s18, v12
	v_subbrev_co_u32_e32 v1, vcc, 0, v13, vcc
	v_and_b32_e32 v20, 31, v0
	v_cmp_lt_i64_e32 vcc, v[18:19], v[14:15]
	v_cndmask_b32_e32 v13, v15, v19, vcc
	v_cndmask_b32_e32 v12, v14, v18, vcc
	v_add_co_u32_e32 v8, vcc, v10, v20
	v_addc_co_u32_e32 v9, vcc, 0, v11, vcc
	v_mbcnt_lo_u32_b32 v14, -1, 0
	v_add_co_u32_e32 v10, vcc, v16, v20
	v_mbcnt_hi_u32_b32 v14, -1, v14
	v_addc_co_u32_e32 v11, vcc, 0, v17, vcc
	v_and_b32_e32 v15, 64, v14
	v_xor_b32_e32 v16, 31, v20
	v_add_u32_e32 v15, 64, v15
	v_lshrrev_b32_e64 v28, v16, -1
	v_add_co_u32_e32 v29, vcc, s18, v20
	v_xor_b32_e32 v16, 16, v14
	v_addc_co_u32_e64 v30, s[4:5], 0, 0, vcc
	v_cmp_lt_i32_e32 vcc, v16, v15
	v_cndmask_b32_e32 v16, v14, v16, vcc
	v_lshlrev_b32_e32 v31, 2, v16
	v_xor_b32_e32 v16, 8, v14
	v_cmp_lt_i32_e32 vcc, v16, v15
	v_cndmask_b32_e32 v16, v14, v16, vcc
	v_lshlrev_b32_e32 v32, 2, v16
	v_xor_b32_e32 v16, 4, v14
	;; [unrolled: 4-line block ×4, first 2 shown]
	s_add_u32 s22, s22, -8
	v_cmp_lt_i32_e32 vcc, v16, v15
	s_addc_u32 s23, s23, -1
	v_cndmask_b32_e32 v14, v14, v16, vcc
	s_waitcnt lgkmcnt(0)
	s_add_u32 s26, s0, -4
	v_mov_b32_e32 v0, 0
	v_lshl_or_b32 v27, v20, 2, v26
	v_lshlrev_b32_e32 v35, 2, v14
	s_addc_u32 s27, s1, -1
	s_mov_b64 s[4:5], 0
	v_add_u32_e32 v36, v7, v20
	v_mov_b32_e32 v37, 1
	s_branch .LBB4_13
.LBB4_12:                               ;   in Loop: Header=BB4_13 Depth=1
	s_or_b64 exec, exec, s[12:13]
	ds_bpermute_b32 v12, v31, v14
	ds_bpermute_b32 v13, v31, v15
	s_waitcnt lgkmcnt(0)
	v_cmp_lt_i64_e64 s[0:1], v[12:13], v[14:15]
	v_cndmask_b32_e64 v13, v15, v13, s[0:1]
	v_cndmask_b32_e64 v12, v14, v12, s[0:1]
	ds_bpermute_b32 v15, v32, v13
	ds_bpermute_b32 v14, v32, v12
	s_waitcnt lgkmcnt(0)
	v_cmp_lt_i64_e64 s[0:1], v[14:15], v[12:13]
	v_cndmask_b32_e64 v13, v13, v15, s[0:1]
	v_cndmask_b32_e64 v12, v12, v14, s[0:1]
	;; [unrolled: 6-line block ×4, first 2 shown]
	ds_bpermute_b32 v15, v35, v13
	ds_bpermute_b32 v14, v35, v12
	s_bcnt1_i32_b64 s0, vcc
	s_waitcnt lgkmcnt(0)
	v_cmp_lt_i64_e32 vcc, v[14:15], v[12:13]
	v_cndmask_b32_e32 v13, v13, v15, vcc
	v_cndmask_b32_e32 v12, v12, v14, vcc
	v_cmp_le_i64_e32 vcc, s[10:11], v[12:13]
	s_or_b64 s[4:5], vcc, s[4:5]
	v_add_co_u32_e32 v6, vcc, s0, v6
	v_addc_co_u32_e32 v1, vcc, 0, v1, vcc
	s_andn2_b64 exec, exec, s[4:5]
	s_cbranch_execz .LBB4_35
.LBB4_13:                               ; =>This Loop Header: Depth=1
                                        ;     Child Loop BB4_16 Depth 2
                                        ;     Child Loop BB4_26 Depth 2
	v_cmp_lt_i64_e32 vcc, v[8:9], v[2:3]
	v_pk_mov_b32 v[14:15], s[10:11], s[10:11] op_sel:[0,1]
	ds_write_b8 v36, v0
	ds_write_b32 v27, v0
	s_waitcnt lgkmcnt(0)
	s_and_saveexec_b64 s[12:13], vcc
	s_cbranch_execz .LBB4_23
; %bb.14:                               ;   in Loop: Header=BB4_13 Depth=1
	v_lshlrev_b64 v[14:15], 3, v[8:9]
	v_mov_b32_e32 v17, s3
	v_add_co_u32_e32 v16, vcc, s2, v14
	v_addc_co_u32_e32 v17, vcc, v17, v15, vcc
	v_lshlrev_b64 v[14:15], 2, v[8:9]
	v_mov_b32_e32 v19, s9
	v_add_co_u32_e32 v18, vcc, s8, v14
	v_addc_co_u32_e32 v19, vcc, v19, v15, vcc
	s_mov_b64 s[16:17], 0
	v_pk_mov_b32 v[14:15], s[10:11], s[10:11] op_sel:[0,1]
	s_branch .LBB4_16
.LBB4_15:                               ;   in Loop: Header=BB4_16 Depth=2
	s_or_b64 exec, exec, s[0:1]
	s_and_b64 s[0:1], exec, s[18:19]
	s_or_b64 s[16:17], s[0:1], s[16:17]
	s_andn2_b64 exec, exec, s[16:17]
	s_cbranch_execz .LBB4_22
.LBB4_16:                               ;   Parent Loop BB4_13 Depth=1
                                        ; =>  This Inner Loop Header: Depth=2
	global_load_dwordx2 v[20:21], v[16:17], off
	v_mov_b32_e32 v23, s24
	s_waitcnt vmcnt(0)
	v_subrev_co_u32_e32 v22, vcc, s21, v20
	v_subb_co_u32_e32 v23, vcc, v21, v23, vcc
	v_sub_co_u32_e32 v20, vcc, v22, v12
	v_subb_co_u32_e32 v21, vcc, v23, v13, vcc
	v_cmp_gt_i64_e32 vcc, 32, v[20:21]
	v_cmp_lt_i64_e64 s[0:1], 31, v[20:21]
	s_and_saveexec_b64 s[18:19], s[0:1]
	s_xor_b64 s[18:19], exec, s[18:19]
	s_cbranch_execnz .LBB4_19
; %bb.17:                               ;   in Loop: Header=BB4_16 Depth=2
	s_andn2_saveexec_b64 s[0:1], s[18:19]
	s_cbranch_execnz .LBB4_20
.LBB4_18:                               ;   in Loop: Header=BB4_16 Depth=2
	s_or_b64 exec, exec, s[0:1]
	s_mov_b64 s[18:19], -1
	s_and_saveexec_b64 s[0:1], vcc
	s_cbranch_execz .LBB4_15
	s_branch .LBB4_21
.LBB4_19:                               ;   in Loop: Header=BB4_16 Depth=2
	v_cmp_lt_i64_e64 s[0:1], v[22:23], v[14:15]
	v_cndmask_b32_e64 v15, v15, v23, s[0:1]
	v_cndmask_b32_e64 v14, v14, v22, s[0:1]
                                        ; implicit-def: $vgpr20
	s_andn2_saveexec_b64 s[0:1], s[18:19]
	s_cbranch_execz .LBB4_18
.LBB4_20:                               ;   in Loop: Header=BB4_16 Depth=2
	global_load_dword v21, v[18:19], off
	v_add_u32_e32 v22, v7, v20
	v_lshl_add_u32 v20, v20, 2, v26
	ds_write_b8 v22, v37
	s_waitcnt vmcnt(0)
	v_mul_f32_e32 v21, v24, v21
	ds_write_b32 v20, v21
	s_or_b64 exec, exec, s[0:1]
	s_mov_b64 s[18:19], -1
	s_and_saveexec_b64 s[0:1], vcc
	s_cbranch_execz .LBB4_15
.LBB4_21:                               ;   in Loop: Header=BB4_16 Depth=2
	v_add_co_u32_e32 v8, vcc, 32, v8
	v_addc_co_u32_e32 v9, vcc, 0, v9, vcc
	v_add_co_u32_e32 v16, vcc, 0x100, v16
	v_addc_co_u32_e32 v17, vcc, 0, v17, vcc
	;; [unrolled: 2-line block ×3, first 2 shown]
	v_cmp_ge_i64_e32 vcc, v[8:9], v[2:3]
	s_orn2_b64 s[18:19], vcc, exec
	s_branch .LBB4_15
.LBB4_22:                               ;   in Loop: Header=BB4_13 Depth=1
	s_or_b64 exec, exec, s[16:17]
.LBB4_23:                               ;   in Loop: Header=BB4_13 Depth=1
	s_or_b64 exec, exec, s[12:13]
	v_cmp_lt_i64_e32 vcc, v[10:11], v[4:5]
	s_waitcnt lgkmcnt(0)
	s_and_saveexec_b64 s[12:13], vcc
	s_cbranch_execz .LBB4_33
; %bb.24:                               ;   in Loop: Header=BB4_13 Depth=1
	v_lshlrev_b64 v[16:17], 3, v[10:11]
	v_mov_b32_e32 v18, s15
	v_add_co_u32_e32 v16, vcc, s14, v16
	v_addc_co_u32_e32 v17, vcc, v18, v17, vcc
	v_lshlrev_b64 v[18:19], 2, v[10:11]
	v_mov_b32_e32 v20, s7
	v_add_co_u32_e32 v18, vcc, s6, v18
	v_addc_co_u32_e32 v19, vcc, v20, v19, vcc
	s_mov_b64 s[16:17], 0
	s_branch .LBB4_26
.LBB4_25:                               ;   in Loop: Header=BB4_26 Depth=2
	s_or_b64 exec, exec, s[0:1]
	s_and_b64 s[0:1], exec, s[18:19]
	s_or_b64 s[16:17], s[0:1], s[16:17]
	s_andn2_b64 exec, exec, s[16:17]
	s_cbranch_execz .LBB4_32
.LBB4_26:                               ;   Parent Loop BB4_13 Depth=1
                                        ; =>  This Inner Loop Header: Depth=2
	global_load_dwordx2 v[20:21], v[16:17], off
	v_mov_b32_e32 v23, s20
	s_waitcnt vmcnt(0)
	v_subrev_co_u32_e32 v22, vcc, s25, v20
	v_subb_co_u32_e32 v23, vcc, v21, v23, vcc
	v_sub_co_u32_e32 v20, vcc, v22, v12
	v_subb_co_u32_e32 v21, vcc, v23, v13, vcc
	v_cmp_gt_i64_e32 vcc, 32, v[20:21]
	v_cmp_lt_i64_e64 s[0:1], 31, v[20:21]
	s_and_saveexec_b64 s[18:19], s[0:1]
	s_xor_b64 s[18:19], exec, s[18:19]
	s_cbranch_execnz .LBB4_29
; %bb.27:                               ;   in Loop: Header=BB4_26 Depth=2
	s_andn2_saveexec_b64 s[0:1], s[18:19]
	s_cbranch_execnz .LBB4_30
.LBB4_28:                               ;   in Loop: Header=BB4_26 Depth=2
	s_or_b64 exec, exec, s[0:1]
	s_mov_b64 s[18:19], -1
	s_and_saveexec_b64 s[0:1], vcc
	s_cbranch_execz .LBB4_25
	s_branch .LBB4_31
.LBB4_29:                               ;   in Loop: Header=BB4_26 Depth=2
	v_cmp_lt_i64_e64 s[0:1], v[22:23], v[14:15]
	v_cndmask_b32_e64 v15, v15, v23, s[0:1]
	v_cndmask_b32_e64 v14, v14, v22, s[0:1]
                                        ; implicit-def: $vgpr20
	s_andn2_saveexec_b64 s[0:1], s[18:19]
	s_cbranch_execz .LBB4_28
.LBB4_30:                               ;   in Loop: Header=BB4_26 Depth=2
	global_load_dword v21, v[18:19], off
	v_lshl_add_u32 v22, v20, 2, v26
	ds_read_b32 v23, v22
	v_add_u32_e32 v20, v7, v20
	ds_write_b8 v20, v37
	s_waitcnt vmcnt(0) lgkmcnt(1)
	v_fmac_f32_e32 v23, v25, v21
	ds_write_b32 v22, v23
	s_or_b64 exec, exec, s[0:1]
	s_mov_b64 s[18:19], -1
	s_and_saveexec_b64 s[0:1], vcc
	s_cbranch_execz .LBB4_25
.LBB4_31:                               ;   in Loop: Header=BB4_26 Depth=2
	v_add_co_u32_e32 v10, vcc, 32, v10
	v_addc_co_u32_e32 v11, vcc, 0, v11, vcc
	v_add_co_u32_e32 v16, vcc, 0x100, v16
	v_addc_co_u32_e32 v17, vcc, 0, v17, vcc
	;; [unrolled: 2-line block ×3, first 2 shown]
	v_cmp_ge_i64_e32 vcc, v[10:11], v[4:5]
	s_orn2_b64 s[18:19], vcc, exec
	s_branch .LBB4_25
.LBB4_32:                               ;   in Loop: Header=BB4_13 Depth=1
	s_or_b64 exec, exec, s[16:17]
.LBB4_33:                               ;   in Loop: Header=BB4_13 Depth=1
	s_or_b64 exec, exec, s[12:13]
	s_waitcnt lgkmcnt(0)
	ds_read_u8 v16, v36
	s_waitcnt lgkmcnt(0)
	v_and_b32_e32 v17, 1, v16
	v_cmp_eq_u32_e64 s[0:1], 1, v17
	v_cmp_ne_u16_e32 vcc, 0, v16
	s_and_saveexec_b64 s[12:13], s[0:1]
	s_cbranch_execz .LBB4_12
; %bb.34:                               ;   in Loop: Header=BB4_13 Depth=1
	v_and_b32_e32 v16, vcc_lo, v28
	v_add_co_u32_e64 v12, s[0:1], v29, v12
	v_bcnt_u32_b32 v16, v16, 0
	v_addc_co_u32_e64 v13, s[0:1], v30, v13, s[0:1]
	v_add_co_u32_e64 v16, s[0:1], v6, v16
	v_addc_co_u32_e64 v17, s[0:1], 0, v1, s[0:1]
	v_lshlrev_b64 v[18:19], 3, v[16:17]
	v_mov_b32_e32 v20, s23
	v_add_co_u32_e64 v18, s[0:1], s22, v18
	v_addc_co_u32_e64 v19, s[0:1], v20, v19, s[0:1]
	global_store_dwordx2 v[18:19], v[12:13], off
	ds_read_b32 v18, v27
	v_lshlrev_b64 v[12:13], 2, v[16:17]
	v_mov_b32_e32 v16, s27
	v_add_co_u32_e64 v12, s[0:1], s26, v12
	v_addc_co_u32_e64 v13, s[0:1], v16, v13, s[0:1]
	s_waitcnt lgkmcnt(0)
	global_store_dword v[12:13], v18, off
	s_branch .LBB4_12
.LBB4_35:
	s_endpgm
	.section	.rodata,"a",@progbits
	.p2align	6, 0x0
	.amdhsa_kernel _ZN9rocsparseL29csrgeam_fill_multipass_kernelILj256ELj32EllfEEvllNS_24const_host_device_scalarIT3_EEPKT1_PKT2_PKS2_S3_S6_S9_SB_S6_PS7_PS2_21rocsparse_index_base_SE_SE_bbb
		.amdhsa_group_segment_fixed_size 1280
		.amdhsa_private_segment_fixed_size 0
		.amdhsa_kernarg_size 120
		.amdhsa_user_sgpr_count 6
		.amdhsa_user_sgpr_private_segment_buffer 1
		.amdhsa_user_sgpr_dispatch_ptr 0
		.amdhsa_user_sgpr_queue_ptr 0
		.amdhsa_user_sgpr_kernarg_segment_ptr 1
		.amdhsa_user_sgpr_dispatch_id 0
		.amdhsa_user_sgpr_flat_scratch_init 0
		.amdhsa_user_sgpr_kernarg_preload_length 0
		.amdhsa_user_sgpr_kernarg_preload_offset 0
		.amdhsa_user_sgpr_private_segment_size 0
		.amdhsa_uses_dynamic_stack 0
		.amdhsa_system_sgpr_private_segment_wavefront_offset 0
		.amdhsa_system_sgpr_workgroup_id_x 1
		.amdhsa_system_sgpr_workgroup_id_y 0
		.amdhsa_system_sgpr_workgroup_id_z 0
		.amdhsa_system_sgpr_workgroup_info 0
		.amdhsa_system_vgpr_workitem_id 0
		.amdhsa_next_free_vgpr 38
		.amdhsa_next_free_sgpr 28
		.amdhsa_accum_offset 40
		.amdhsa_reserve_vcc 1
		.amdhsa_reserve_flat_scratch 0
		.amdhsa_float_round_mode_32 0
		.amdhsa_float_round_mode_16_64 0
		.amdhsa_float_denorm_mode_32 3
		.amdhsa_float_denorm_mode_16_64 3
		.amdhsa_dx10_clamp 1
		.amdhsa_ieee_mode 1
		.amdhsa_fp16_overflow 0
		.amdhsa_tg_split 0
		.amdhsa_exception_fp_ieee_invalid_op 0
		.amdhsa_exception_fp_denorm_src 0
		.amdhsa_exception_fp_ieee_div_zero 0
		.amdhsa_exception_fp_ieee_overflow 0
		.amdhsa_exception_fp_ieee_underflow 0
		.amdhsa_exception_fp_ieee_inexact 0
		.amdhsa_exception_int_div_zero 0
	.end_amdhsa_kernel
	.section	.text._ZN9rocsparseL29csrgeam_fill_multipass_kernelILj256ELj32EllfEEvllNS_24const_host_device_scalarIT3_EEPKT1_PKT2_PKS2_S3_S6_S9_SB_S6_PS7_PS2_21rocsparse_index_base_SE_SE_bbb,"axG",@progbits,_ZN9rocsparseL29csrgeam_fill_multipass_kernelILj256ELj32EllfEEvllNS_24const_host_device_scalarIT3_EEPKT1_PKT2_PKS2_S3_S6_S9_SB_S6_PS7_PS2_21rocsparse_index_base_SE_SE_bbb,comdat
.Lfunc_end4:
	.size	_ZN9rocsparseL29csrgeam_fill_multipass_kernelILj256ELj32EllfEEvllNS_24const_host_device_scalarIT3_EEPKT1_PKT2_PKS2_S3_S6_S9_SB_S6_PS7_PS2_21rocsparse_index_base_SE_SE_bbb, .Lfunc_end4-_ZN9rocsparseL29csrgeam_fill_multipass_kernelILj256ELj32EllfEEvllNS_24const_host_device_scalarIT3_EEPKT1_PKT2_PKS2_S3_S6_S9_SB_S6_PS7_PS2_21rocsparse_index_base_SE_SE_bbb
                                        ; -- End function
	.section	.AMDGPU.csdata,"",@progbits
; Kernel info:
; codeLenInByte = 1800
; NumSgprs: 32
; NumVgprs: 38
; NumAgprs: 0
; TotalNumVgprs: 38
; ScratchSize: 0
; MemoryBound: 0
; FloatMode: 240
; IeeeMode: 1
; LDSByteSize: 1280 bytes/workgroup (compile time only)
; SGPRBlocks: 3
; VGPRBlocks: 4
; NumSGPRsForWavesPerEU: 32
; NumVGPRsForWavesPerEU: 38
; AccumOffset: 40
; Occupancy: 8
; WaveLimiterHint : 1
; COMPUTE_PGM_RSRC2:SCRATCH_EN: 0
; COMPUTE_PGM_RSRC2:USER_SGPR: 6
; COMPUTE_PGM_RSRC2:TRAP_HANDLER: 0
; COMPUTE_PGM_RSRC2:TGID_X_EN: 1
; COMPUTE_PGM_RSRC2:TGID_Y_EN: 0
; COMPUTE_PGM_RSRC2:TGID_Z_EN: 0
; COMPUTE_PGM_RSRC2:TIDIG_COMP_CNT: 0
; COMPUTE_PGM_RSRC3_GFX90A:ACCUM_OFFSET: 9
; COMPUTE_PGM_RSRC3_GFX90A:TG_SPLIT: 0
	.section	.text._ZN9rocsparseL29csrgeam_fill_multipass_kernelILj256ELj64EllfEEvllNS_24const_host_device_scalarIT3_EEPKT1_PKT2_PKS2_S3_S6_S9_SB_S6_PS7_PS2_21rocsparse_index_base_SE_SE_bbb,"axG",@progbits,_ZN9rocsparseL29csrgeam_fill_multipass_kernelILj256ELj64EllfEEvllNS_24const_host_device_scalarIT3_EEPKT1_PKT2_PKS2_S3_S6_S9_SB_S6_PS7_PS2_21rocsparse_index_base_SE_SE_bbb,comdat
	.globl	_ZN9rocsparseL29csrgeam_fill_multipass_kernelILj256ELj64EllfEEvllNS_24const_host_device_scalarIT3_EEPKT1_PKT2_PKS2_S3_S6_S9_SB_S6_PS7_PS2_21rocsparse_index_base_SE_SE_bbb ; -- Begin function _ZN9rocsparseL29csrgeam_fill_multipass_kernelILj256ELj64EllfEEvllNS_24const_host_device_scalarIT3_EEPKT1_PKT2_PKS2_S3_S6_S9_SB_S6_PS7_PS2_21rocsparse_index_base_SE_SE_bbb
	.p2align	8
	.type	_ZN9rocsparseL29csrgeam_fill_multipass_kernelILj256ELj64EllfEEvllNS_24const_host_device_scalarIT3_EEPKT1_PKT2_PKS2_S3_S6_S9_SB_S6_PS7_PS2_21rocsparse_index_base_SE_SE_bbb,@function
_ZN9rocsparseL29csrgeam_fill_multipass_kernelILj256ELj64EllfEEvllNS_24const_host_device_scalarIT3_EEPKT1_PKT2_PKS2_S3_S6_S9_SB_S6_PS7_PS2_21rocsparse_index_base_SE_SE_bbb: ; @_ZN9rocsparseL29csrgeam_fill_multipass_kernelILj256ELj64EllfEEvllNS_24const_host_device_scalarIT3_EEPKT1_PKT2_PKS2_S3_S6_S9_SB_S6_PS7_PS2_21rocsparse_index_base_SE_SE_bbb
; %bb.0:
	s_load_dwordx4 s[16:19], s[4:5], 0x68
	s_load_dwordx2 s[2:3], s[4:5], 0x30
	s_load_dword s7, s[4:5], 0x74
	s_load_dwordx4 s[8:11], s[4:5], 0x0
	s_load_dwordx2 s[14:15], s[4:5], 0x10
	s_waitcnt lgkmcnt(0)
	s_bitcmp1_b32 s19, 0
	s_cselect_b64 s[0:1], -1, 0
	s_bitcmp1_b32 s7, 16
	s_cselect_b64 s[12:13], -1, 0
	s_xor_b64 s[20:21], s[0:1], -1
	s_or_b64 s[20:21], s[20:21], s[12:13]
	s_and_b64 vcc, exec, s[20:21]
	s_cbranch_vccnz .LBB5_2
; %bb.1:
	s_load_dword s0, s[14:15], 0x0
	s_waitcnt lgkmcnt(0)
	v_mov_b32_e32 v26, s0
	s_branch .LBB5_3
.LBB5_2:
	v_mov_b32_e32 v1, s14
	v_cndmask_b32_e64 v26, 0, v1, s[0:1]
.LBB5_3:
	s_bitcmp1_b32 s7, 8
	s_cselect_b64 s[0:1], -1, 0
	s_xor_b64 s[14:15], s[0:1], -1
	s_or_b64 s[12:13], s[14:15], s[12:13]
	s_and_b64 vcc, exec, s[12:13]
	s_cbranch_vccnz .LBB5_5
; %bb.4:
	s_load_dword s0, s[2:3], 0x0
	s_waitcnt lgkmcnt(0)
	v_mov_b32_e32 v27, s0
	s_branch .LBB5_6
.LBB5_5:
	v_mov_b32_e32 v1, s2
	v_cndmask_b32_e64 v27, 0, v1, s[0:1]
.LBB5_6:
	s_lshl_b32 s0, s6, 2
	v_lshrrev_b32_e32 v1, 6, v0
	s_and_b32 s0, s0, 0x3fffffc
	v_or_b32_e32 v2, s0, v1
	v_mov_b32_e32 v3, 0
	v_cmp_gt_i64_e32 vcc, s[8:9], v[2:3]
	s_and_saveexec_b64 s[0:1], vcc
	s_cbranch_execz .LBB5_35
; %bb.7:
	s_load_dwordx4 s[0:3], s[4:5], 0x18
	s_load_dwordx4 s[12:15], s[4:5], 0x38
	;; [unrolled: 1-line block ×3, first 2 shown]
	v_lshlrev_b32_e32 v1, 3, v2
	v_pk_mov_b32 v[14:15], s[10:11], s[10:11] op_sel:[0,1]
	s_waitcnt lgkmcnt(0)
	global_load_dwordx4 v[2:5], v1, s[0:1]
	global_load_dwordx4 v[6:9], v1, s[12:13]
	global_load_dwordx2 v[12:13], v1, s[20:21]
	s_load_dwordx2 s[0:1], s[4:5], 0x60
	s_mov_b32 s20, 0
	s_mov_b32 s21, s16
	;; [unrolled: 1-line block ×3, first 2 shown]
	s_waitcnt vmcnt(2)
	v_subrev_co_u32_e32 v10, vcc, s16, v2
	v_subbrev_co_u32_e32 v11, vcc, 0, v3, vcc
	v_cmp_lt_i64_e32 vcc, v[2:3], v[4:5]
	s_and_saveexec_b64 s[6:7], vcc
	s_cbranch_execz .LBB5_9
; %bb.8:
	v_lshlrev_b64 v[2:3], 3, v[10:11]
	v_mov_b32_e32 v1, s3
	v_add_co_u32_e32 v2, vcc, s2, v2
	v_addc_co_u32_e32 v3, vcc, v1, v3, vcc
	global_load_dwordx2 v[2:3], v[2:3], off
	v_mov_b32_e32 v1, s24
	s_waitcnt vmcnt(0)
	v_subrev_co_u32_e32 v14, vcc, s21, v2
	v_subb_co_u32_e32 v15, vcc, v3, v1, vcc
.LBB5_9:
	s_or_b64 exec, exec, s[6:7]
	s_load_dwordx2 s[6:7], s[4:5], 0x48
	s_load_dwordx2 s[8:9], s[4:5], 0x28
	s_waitcnt vmcnt(1)
	v_subrev_co_u32_e32 v16, vcc, s17, v6
	v_subbrev_co_u32_e32 v17, vcc, 0, v7, vcc
	s_mov_b32 s25, s17
	v_cmp_lt_i64_e32 vcc, v[6:7], v[8:9]
	v_pk_mov_b32 v[18:19], s[10:11], s[10:11] op_sel:[0,1]
	s_and_saveexec_b64 s[4:5], vcc
	s_cbranch_execz .LBB5_11
; %bb.10:
	v_lshlrev_b64 v[2:3], 3, v[16:17]
	v_mov_b32_e32 v1, s15
	v_add_co_u32_e32 v2, vcc, s14, v2
	v_addc_co_u32_e32 v3, vcc, v1, v3, vcc
	global_load_dwordx2 v[2:3], v[2:3], off
	v_mov_b32_e32 v1, s20
	s_waitcnt vmcnt(0)
	v_subrev_co_u32_e32 v18, vcc, s25, v2
	v_subb_co_u32_e32 v19, vcc, v3, v1, vcc
.LBB5_11:
	s_or_b64 exec, exec, s[4:5]
	v_and_b32_e32 v1, 0xc0, v0
	v_or_b32_e32 v7, 0x400, v1
	v_lshlrev_b32_e32 v28, 2, v1
	v_mov_b32_e32 v1, s24
	v_subrev_co_u32_e32 v2, vcc, s21, v4
	v_subb_co_u32_e32 v3, vcc, v5, v1, vcc
	v_mov_b32_e32 v1, s20
	v_subrev_co_u32_e32 v4, vcc, s25, v8
	v_subb_co_u32_e32 v5, vcc, v9, v1, vcc
	s_waitcnt vmcnt(0)
	v_subrev_co_u32_e32 v6, vcc, s18, v12
	v_subbrev_co_u32_e32 v1, vcc, 0, v13, vcc
	v_and_b32_e32 v20, 63, v0
	v_cmp_lt_i64_e32 vcc, v[18:19], v[14:15]
	v_cndmask_b32_e32 v15, v15, v19, vcc
	v_cndmask_b32_e32 v14, v14, v18, vcc
	v_add_co_u32_e32 v8, vcc, v10, v20
	v_addc_co_u32_e32 v9, vcc, 0, v11, vcc
	v_mbcnt_lo_u32_b32 v12, -1, 0
	v_add_co_u32_e32 v10, vcc, v16, v20
	v_mbcnt_hi_u32_b32 v16, -1, v12
	v_addc_co_u32_e32 v11, vcc, 0, v17, vcc
	v_and_b32_e32 v12, 64, v16
	v_add_u32_e32 v17, 64, v12
	v_add_co_u32_e32 v30, vcc, s18, v20
	v_xor_b32_e32 v18, 32, v16
	v_addc_co_u32_e64 v31, s[4:5], 0, 0, vcc
	v_cmp_lt_i32_e32 vcc, v18, v17
	v_cndmask_b32_e32 v18, v16, v18, vcc
	v_lshlrev_b32_e32 v32, 2, v18
	v_xor_b32_e32 v18, 16, v16
	v_cmp_lt_i32_e32 vcc, v18, v17
	v_cndmask_b32_e32 v18, v16, v18, vcc
	v_lshlrev_b32_e32 v33, 2, v18
	v_xor_b32_e32 v18, 8, v16
	;; [unrolled: 4-line block ×5, first 2 shown]
	s_add_u32 s22, s22, -8
	v_cmp_lt_i32_e32 vcc, v18, v17
	s_addc_u32 s23, s23, -1
	v_xor_b32_e32 v12, 63, v20
	v_cndmask_b32_e32 v16, v16, v18, vcc
	s_waitcnt lgkmcnt(0)
	s_add_u32 s26, s0, -4
	v_mov_b32_e32 v0, 0
	v_lshl_or_b32 v29, v20, 2, v28
	v_lshrrev_b64 v[12:13], v12, -1
	v_lshlrev_b32_e32 v37, 2, v16
	s_addc_u32 s27, s1, -1
	s_mov_b64 s[4:5], 0
	v_add_u32_e32 v38, v7, v20
	v_mov_b32_e32 v39, 1
	s_branch .LBB5_13
.LBB5_12:                               ;   in Loop: Header=BB5_13 Depth=1
	s_or_b64 exec, exec, s[12:13]
	ds_bpermute_b32 v14, v32, v16
	ds_bpermute_b32 v15, v32, v17
	s_waitcnt lgkmcnt(0)
	v_cmp_lt_i64_e64 s[0:1], v[14:15], v[16:17]
	v_cndmask_b32_e64 v15, v17, v15, s[0:1]
	v_cndmask_b32_e64 v14, v16, v14, s[0:1]
	ds_bpermute_b32 v17, v33, v15
	ds_bpermute_b32 v16, v33, v14
	s_waitcnt lgkmcnt(0)
	v_cmp_lt_i64_e64 s[0:1], v[16:17], v[14:15]
	v_cndmask_b32_e64 v15, v15, v17, s[0:1]
	v_cndmask_b32_e64 v14, v14, v16, s[0:1]
	;; [unrolled: 6-line block ×5, first 2 shown]
	ds_bpermute_b32 v17, v37, v15
	ds_bpermute_b32 v16, v37, v14
	s_bcnt1_i32_b64 s0, vcc
	s_waitcnt lgkmcnt(0)
	v_cmp_lt_i64_e32 vcc, v[16:17], v[14:15]
	v_cndmask_b32_e32 v15, v15, v17, vcc
	v_cndmask_b32_e32 v14, v14, v16, vcc
	v_cmp_le_i64_e32 vcc, s[10:11], v[14:15]
	s_or_b64 s[4:5], vcc, s[4:5]
	v_add_co_u32_e32 v6, vcc, s0, v6
	v_addc_co_u32_e32 v1, vcc, 0, v1, vcc
	s_andn2_b64 exec, exec, s[4:5]
	s_cbranch_execz .LBB5_35
.LBB5_13:                               ; =>This Loop Header: Depth=1
                                        ;     Child Loop BB5_16 Depth 2
                                        ;     Child Loop BB5_26 Depth 2
	v_cmp_lt_i64_e32 vcc, v[8:9], v[2:3]
	v_pk_mov_b32 v[16:17], s[10:11], s[10:11] op_sel:[0,1]
	ds_write_b8 v38, v0
	ds_write_b32 v29, v0
	s_waitcnt lgkmcnt(0)
	s_and_saveexec_b64 s[12:13], vcc
	s_cbranch_execz .LBB5_23
; %bb.14:                               ;   in Loop: Header=BB5_13 Depth=1
	v_lshlrev_b64 v[16:17], 3, v[8:9]
	v_mov_b32_e32 v19, s3
	v_add_co_u32_e32 v18, vcc, s2, v16
	v_addc_co_u32_e32 v19, vcc, v19, v17, vcc
	v_lshlrev_b64 v[16:17], 2, v[8:9]
	v_mov_b32_e32 v21, s9
	v_add_co_u32_e32 v20, vcc, s8, v16
	v_addc_co_u32_e32 v21, vcc, v21, v17, vcc
	s_mov_b64 s[16:17], 0
	v_pk_mov_b32 v[16:17], s[10:11], s[10:11] op_sel:[0,1]
	s_branch .LBB5_16
.LBB5_15:                               ;   in Loop: Header=BB5_16 Depth=2
	s_or_b64 exec, exec, s[0:1]
	s_and_b64 s[0:1], exec, s[18:19]
	s_or_b64 s[16:17], s[0:1], s[16:17]
	s_andn2_b64 exec, exec, s[16:17]
	s_cbranch_execz .LBB5_22
.LBB5_16:                               ;   Parent Loop BB5_13 Depth=1
                                        ; =>  This Inner Loop Header: Depth=2
	global_load_dwordx2 v[22:23], v[18:19], off
	v_mov_b32_e32 v25, s24
	s_waitcnt vmcnt(0)
	v_subrev_co_u32_e32 v24, vcc, s21, v22
	v_subb_co_u32_e32 v25, vcc, v23, v25, vcc
	v_sub_co_u32_e32 v22, vcc, v24, v14
	v_subb_co_u32_e32 v23, vcc, v25, v15, vcc
	v_cmp_gt_i64_e32 vcc, 64, v[22:23]
	v_cmp_lt_i64_e64 s[0:1], 63, v[22:23]
	s_and_saveexec_b64 s[18:19], s[0:1]
	s_xor_b64 s[18:19], exec, s[18:19]
	s_cbranch_execnz .LBB5_19
; %bb.17:                               ;   in Loop: Header=BB5_16 Depth=2
	s_andn2_saveexec_b64 s[0:1], s[18:19]
	s_cbranch_execnz .LBB5_20
.LBB5_18:                               ;   in Loop: Header=BB5_16 Depth=2
	s_or_b64 exec, exec, s[0:1]
	s_mov_b64 s[18:19], -1
	s_and_saveexec_b64 s[0:1], vcc
	s_cbranch_execz .LBB5_15
	s_branch .LBB5_21
.LBB5_19:                               ;   in Loop: Header=BB5_16 Depth=2
	v_cmp_lt_i64_e64 s[0:1], v[24:25], v[16:17]
	v_cndmask_b32_e64 v17, v17, v25, s[0:1]
	v_cndmask_b32_e64 v16, v16, v24, s[0:1]
                                        ; implicit-def: $vgpr22
	s_andn2_saveexec_b64 s[0:1], s[18:19]
	s_cbranch_execz .LBB5_18
.LBB5_20:                               ;   in Loop: Header=BB5_16 Depth=2
	global_load_dword v23, v[20:21], off
	v_add_u32_e32 v24, v7, v22
	v_lshl_add_u32 v22, v22, 2, v28
	ds_write_b8 v24, v39
	s_waitcnt vmcnt(0)
	v_mul_f32_e32 v23, v26, v23
	ds_write_b32 v22, v23
	s_or_b64 exec, exec, s[0:1]
	s_mov_b64 s[18:19], -1
	s_and_saveexec_b64 s[0:1], vcc
	s_cbranch_execz .LBB5_15
.LBB5_21:                               ;   in Loop: Header=BB5_16 Depth=2
	v_add_co_u32_e32 v8, vcc, 64, v8
	v_addc_co_u32_e32 v9, vcc, 0, v9, vcc
	v_add_co_u32_e32 v18, vcc, 0x200, v18
	v_addc_co_u32_e32 v19, vcc, 0, v19, vcc
	v_add_co_u32_e32 v20, vcc, 0x100, v20
	v_addc_co_u32_e32 v21, vcc, 0, v21, vcc
	v_cmp_ge_i64_e32 vcc, v[8:9], v[2:3]
	s_orn2_b64 s[18:19], vcc, exec
	s_branch .LBB5_15
.LBB5_22:                               ;   in Loop: Header=BB5_13 Depth=1
	s_or_b64 exec, exec, s[16:17]
.LBB5_23:                               ;   in Loop: Header=BB5_13 Depth=1
	s_or_b64 exec, exec, s[12:13]
	v_cmp_lt_i64_e32 vcc, v[10:11], v[4:5]
	s_waitcnt lgkmcnt(0)
	s_and_saveexec_b64 s[12:13], vcc
	s_cbranch_execz .LBB5_33
; %bb.24:                               ;   in Loop: Header=BB5_13 Depth=1
	v_lshlrev_b64 v[18:19], 3, v[10:11]
	v_mov_b32_e32 v20, s15
	v_add_co_u32_e32 v18, vcc, s14, v18
	v_addc_co_u32_e32 v19, vcc, v20, v19, vcc
	v_lshlrev_b64 v[20:21], 2, v[10:11]
	v_mov_b32_e32 v22, s7
	v_add_co_u32_e32 v20, vcc, s6, v20
	v_addc_co_u32_e32 v21, vcc, v22, v21, vcc
	s_mov_b64 s[16:17], 0
	s_branch .LBB5_26
.LBB5_25:                               ;   in Loop: Header=BB5_26 Depth=2
	s_or_b64 exec, exec, s[0:1]
	s_and_b64 s[0:1], exec, s[18:19]
	s_or_b64 s[16:17], s[0:1], s[16:17]
	s_andn2_b64 exec, exec, s[16:17]
	s_cbranch_execz .LBB5_32
.LBB5_26:                               ;   Parent Loop BB5_13 Depth=1
                                        ; =>  This Inner Loop Header: Depth=2
	global_load_dwordx2 v[22:23], v[18:19], off
	v_mov_b32_e32 v25, s20
	s_waitcnt vmcnt(0)
	v_subrev_co_u32_e32 v24, vcc, s25, v22
	v_subb_co_u32_e32 v25, vcc, v23, v25, vcc
	v_sub_co_u32_e32 v22, vcc, v24, v14
	v_subb_co_u32_e32 v23, vcc, v25, v15, vcc
	v_cmp_gt_i64_e32 vcc, 64, v[22:23]
	v_cmp_lt_i64_e64 s[0:1], 63, v[22:23]
	s_and_saveexec_b64 s[18:19], s[0:1]
	s_xor_b64 s[18:19], exec, s[18:19]
	s_cbranch_execnz .LBB5_29
; %bb.27:                               ;   in Loop: Header=BB5_26 Depth=2
	s_andn2_saveexec_b64 s[0:1], s[18:19]
	s_cbranch_execnz .LBB5_30
.LBB5_28:                               ;   in Loop: Header=BB5_26 Depth=2
	s_or_b64 exec, exec, s[0:1]
	s_mov_b64 s[18:19], -1
	s_and_saveexec_b64 s[0:1], vcc
	s_cbranch_execz .LBB5_25
	s_branch .LBB5_31
.LBB5_29:                               ;   in Loop: Header=BB5_26 Depth=2
	v_cmp_lt_i64_e64 s[0:1], v[24:25], v[16:17]
	v_cndmask_b32_e64 v17, v17, v25, s[0:1]
	v_cndmask_b32_e64 v16, v16, v24, s[0:1]
                                        ; implicit-def: $vgpr22
	s_andn2_saveexec_b64 s[0:1], s[18:19]
	s_cbranch_execz .LBB5_28
.LBB5_30:                               ;   in Loop: Header=BB5_26 Depth=2
	global_load_dword v23, v[20:21], off
	v_lshl_add_u32 v24, v22, 2, v28
	ds_read_b32 v25, v24
	v_add_u32_e32 v22, v7, v22
	ds_write_b8 v22, v39
	s_waitcnt vmcnt(0) lgkmcnt(1)
	v_fmac_f32_e32 v25, v27, v23
	ds_write_b32 v24, v25
	s_or_b64 exec, exec, s[0:1]
	s_mov_b64 s[18:19], -1
	s_and_saveexec_b64 s[0:1], vcc
	s_cbranch_execz .LBB5_25
.LBB5_31:                               ;   in Loop: Header=BB5_26 Depth=2
	v_add_co_u32_e32 v10, vcc, 64, v10
	v_addc_co_u32_e32 v11, vcc, 0, v11, vcc
	v_add_co_u32_e32 v18, vcc, 0x200, v18
	v_addc_co_u32_e32 v19, vcc, 0, v19, vcc
	;; [unrolled: 2-line block ×3, first 2 shown]
	v_cmp_ge_i64_e32 vcc, v[10:11], v[4:5]
	s_orn2_b64 s[18:19], vcc, exec
	s_branch .LBB5_25
.LBB5_32:                               ;   in Loop: Header=BB5_13 Depth=1
	s_or_b64 exec, exec, s[16:17]
.LBB5_33:                               ;   in Loop: Header=BB5_13 Depth=1
	s_or_b64 exec, exec, s[12:13]
	s_waitcnt lgkmcnt(0)
	ds_read_u8 v18, v38
	s_waitcnt lgkmcnt(0)
	v_and_b32_e32 v19, 1, v18
	v_cmp_eq_u32_e64 s[0:1], 1, v19
	v_cmp_ne_u16_e32 vcc, 0, v18
	s_and_saveexec_b64 s[12:13], s[0:1]
	s_cbranch_execz .LBB5_12
; %bb.34:                               ;   in Loop: Header=BB5_13 Depth=1
	v_and_b32_e32 v19, vcc_lo, v12
	v_and_b32_e32 v18, vcc_hi, v13
	v_bcnt_u32_b32 v19, v19, 0
	v_add_co_u32_e64 v14, s[0:1], v30, v14
	v_bcnt_u32_b32 v18, v18, v19
	v_addc_co_u32_e64 v15, s[0:1], v31, v15, s[0:1]
	v_add_co_u32_e64 v18, s[0:1], v6, v18
	v_addc_co_u32_e64 v19, s[0:1], 0, v1, s[0:1]
	v_lshlrev_b64 v[20:21], 3, v[18:19]
	v_mov_b32_e32 v22, s23
	v_add_co_u32_e64 v20, s[0:1], s22, v20
	v_addc_co_u32_e64 v21, s[0:1], v22, v21, s[0:1]
	global_store_dwordx2 v[20:21], v[14:15], off
	ds_read_b32 v20, v29
	v_lshlrev_b64 v[14:15], 2, v[18:19]
	v_mov_b32_e32 v18, s27
	v_add_co_u32_e64 v14, s[0:1], s26, v14
	v_addc_co_u32_e64 v15, s[0:1], v18, v15, s[0:1]
	s_waitcnt lgkmcnt(0)
	global_store_dword v[14:15], v20, off
	s_branch .LBB5_12
.LBB5_35:
	s_endpgm
	.section	.rodata,"a",@progbits
	.p2align	6, 0x0
	.amdhsa_kernel _ZN9rocsparseL29csrgeam_fill_multipass_kernelILj256ELj64EllfEEvllNS_24const_host_device_scalarIT3_EEPKT1_PKT2_PKS2_S3_S6_S9_SB_S6_PS7_PS2_21rocsparse_index_base_SE_SE_bbb
		.amdhsa_group_segment_fixed_size 1280
		.amdhsa_private_segment_fixed_size 0
		.amdhsa_kernarg_size 120
		.amdhsa_user_sgpr_count 6
		.amdhsa_user_sgpr_private_segment_buffer 1
		.amdhsa_user_sgpr_dispatch_ptr 0
		.amdhsa_user_sgpr_queue_ptr 0
		.amdhsa_user_sgpr_kernarg_segment_ptr 1
		.amdhsa_user_sgpr_dispatch_id 0
		.amdhsa_user_sgpr_flat_scratch_init 0
		.amdhsa_user_sgpr_kernarg_preload_length 0
		.amdhsa_user_sgpr_kernarg_preload_offset 0
		.amdhsa_user_sgpr_private_segment_size 0
		.amdhsa_uses_dynamic_stack 0
		.amdhsa_system_sgpr_private_segment_wavefront_offset 0
		.amdhsa_system_sgpr_workgroup_id_x 1
		.amdhsa_system_sgpr_workgroup_id_y 0
		.amdhsa_system_sgpr_workgroup_id_z 0
		.amdhsa_system_sgpr_workgroup_info 0
		.amdhsa_system_vgpr_workitem_id 0
		.amdhsa_next_free_vgpr 40
		.amdhsa_next_free_sgpr 28
		.amdhsa_accum_offset 40
		.amdhsa_reserve_vcc 1
		.amdhsa_reserve_flat_scratch 0
		.amdhsa_float_round_mode_32 0
		.amdhsa_float_round_mode_16_64 0
		.amdhsa_float_denorm_mode_32 3
		.amdhsa_float_denorm_mode_16_64 3
		.amdhsa_dx10_clamp 1
		.amdhsa_ieee_mode 1
		.amdhsa_fp16_overflow 0
		.amdhsa_tg_split 0
		.amdhsa_exception_fp_ieee_invalid_op 0
		.amdhsa_exception_fp_denorm_src 0
		.amdhsa_exception_fp_ieee_div_zero 0
		.amdhsa_exception_fp_ieee_overflow 0
		.amdhsa_exception_fp_ieee_underflow 0
		.amdhsa_exception_fp_ieee_inexact 0
		.amdhsa_exception_int_div_zero 0
	.end_amdhsa_kernel
	.section	.text._ZN9rocsparseL29csrgeam_fill_multipass_kernelILj256ELj64EllfEEvllNS_24const_host_device_scalarIT3_EEPKT1_PKT2_PKS2_S3_S6_S9_SB_S6_PS7_PS2_21rocsparse_index_base_SE_SE_bbb,"axG",@progbits,_ZN9rocsparseL29csrgeam_fill_multipass_kernelILj256ELj64EllfEEvllNS_24const_host_device_scalarIT3_EEPKT1_PKT2_PKS2_S3_S6_S9_SB_S6_PS7_PS2_21rocsparse_index_base_SE_SE_bbb,comdat
.Lfunc_end5:
	.size	_ZN9rocsparseL29csrgeam_fill_multipass_kernelILj256ELj64EllfEEvllNS_24const_host_device_scalarIT3_EEPKT1_PKT2_PKS2_S3_S6_S9_SB_S6_PS7_PS2_21rocsparse_index_base_SE_SE_bbb, .Lfunc_end5-_ZN9rocsparseL29csrgeam_fill_multipass_kernelILj256ELj64EllfEEvllNS_24const_host_device_scalarIT3_EEPKT1_PKT2_PKS2_S3_S6_S9_SB_S6_PS7_PS2_21rocsparse_index_base_SE_SE_bbb
                                        ; -- End function
	.section	.AMDGPU.csdata,"",@progbits
; Kernel info:
; codeLenInByte = 1872
; NumSgprs: 32
; NumVgprs: 40
; NumAgprs: 0
; TotalNumVgprs: 40
; ScratchSize: 0
; MemoryBound: 0
; FloatMode: 240
; IeeeMode: 1
; LDSByteSize: 1280 bytes/workgroup (compile time only)
; SGPRBlocks: 3
; VGPRBlocks: 4
; NumSGPRsForWavesPerEU: 32
; NumVGPRsForWavesPerEU: 40
; AccumOffset: 40
; Occupancy: 8
; WaveLimiterHint : 1
; COMPUTE_PGM_RSRC2:SCRATCH_EN: 0
; COMPUTE_PGM_RSRC2:USER_SGPR: 6
; COMPUTE_PGM_RSRC2:TRAP_HANDLER: 0
; COMPUTE_PGM_RSRC2:TGID_X_EN: 1
; COMPUTE_PGM_RSRC2:TGID_Y_EN: 0
; COMPUTE_PGM_RSRC2:TGID_Z_EN: 0
; COMPUTE_PGM_RSRC2:TIDIG_COMP_CNT: 0
; COMPUTE_PGM_RSRC3_GFX90A:ACCUM_OFFSET: 9
; COMPUTE_PGM_RSRC3_GFX90A:TG_SPLIT: 0
	.section	.text._ZN9rocsparseL29csrgeam_fill_multipass_kernelILj256ELj32EiidEEvllNS_24const_host_device_scalarIT3_EEPKT1_PKT2_PKS2_S3_S6_S9_SB_S6_PS7_PS2_21rocsparse_index_base_SE_SE_bbb,"axG",@progbits,_ZN9rocsparseL29csrgeam_fill_multipass_kernelILj256ELj32EiidEEvllNS_24const_host_device_scalarIT3_EEPKT1_PKT2_PKS2_S3_S6_S9_SB_S6_PS7_PS2_21rocsparse_index_base_SE_SE_bbb,comdat
	.globl	_ZN9rocsparseL29csrgeam_fill_multipass_kernelILj256ELj32EiidEEvllNS_24const_host_device_scalarIT3_EEPKT1_PKT2_PKS2_S3_S6_S9_SB_S6_PS7_PS2_21rocsparse_index_base_SE_SE_bbb ; -- Begin function _ZN9rocsparseL29csrgeam_fill_multipass_kernelILj256ELj32EiidEEvllNS_24const_host_device_scalarIT3_EEPKT1_PKT2_PKS2_S3_S6_S9_SB_S6_PS7_PS2_21rocsparse_index_base_SE_SE_bbb
	.p2align	8
	.type	_ZN9rocsparseL29csrgeam_fill_multipass_kernelILj256ELj32EiidEEvllNS_24const_host_device_scalarIT3_EEPKT1_PKT2_PKS2_S3_S6_S9_SB_S6_PS7_PS2_21rocsparse_index_base_SE_SE_bbb,@function
_ZN9rocsparseL29csrgeam_fill_multipass_kernelILj256ELj32EiidEEvllNS_24const_host_device_scalarIT3_EEPKT1_PKT2_PKS2_S3_S6_S9_SB_S6_PS7_PS2_21rocsparse_index_base_SE_SE_bbb: ; @_ZN9rocsparseL29csrgeam_fill_multipass_kernelILj256ELj32EiidEEvllNS_24const_host_device_scalarIT3_EEPKT1_PKT2_PKS2_S3_S6_S9_SB_S6_PS7_PS2_21rocsparse_index_base_SE_SE_bbb
; %bb.0:
	s_load_dwordx4 s[8:11], s[4:5], 0x68
	s_load_dword s7, s[4:5], 0x74
	s_load_dwordx2 s[12:13], s[4:5], 0x30
	s_load_dwordx4 s[0:3], s[4:5], 0x0
	s_load_dwordx2 s[16:17], s[4:5], 0x10
	s_waitcnt lgkmcnt(0)
	s_and_b32 s11, 1, s11
	s_bitcmp1_b32 s7, 16
	s_cselect_b64 s[14:15], -1, 0
	s_cmp_eq_u32 s11, 1
	s_cselect_b64 s[18:19], -1, 0
	s_and_b64 s[20:21], s[18:19], exec
	s_cselect_b32 s21, s17, 0
	s_cselect_b32 s20, s16, 0
	s_xor_b64 s[18:19], s[18:19], -1
	s_or_b64 s[18:19], s[18:19], s[14:15]
	s_and_b64 vcc, exec, s[18:19]
	v_pk_mov_b32 v[2:3], s[20:21], s[20:21] op_sel:[0,1]
	s_cbranch_vccnz .LBB6_2
; %bb.1:
	v_pk_mov_b32 v[2:3], s[16:17], s[16:17] op_sel:[0,1]
	flat_load_dwordx2 v[2:3], v[2:3]
.LBB6_2:
	s_bitcmp1_b32 s7, 8
	s_cselect_b64 s[16:17], -1, 0
	s_and_b64 s[18:19], s[16:17], exec
	s_cselect_b32 s19, s13, 0
	s_cselect_b32 s18, s12, 0
	s_xor_b64 s[16:17], s[16:17], -1
	s_or_b64 s[14:15], s[16:17], s[14:15]
	s_and_b64 vcc, exec, s[14:15]
	v_pk_mov_b32 v[4:5], s[18:19], s[18:19] op_sel:[0,1]
	s_cbranch_vccnz .LBB6_4
; %bb.3:
	v_pk_mov_b32 v[4:5], s[12:13], s[12:13] op_sel:[0,1]
	flat_load_dwordx2 v[4:5], v[4:5]
.LBB6_4:
	s_lshl_b32 s6, s6, 3
	v_lshrrev_b32_e32 v1, 5, v0
	s_and_b32 s6, s6, 0x7fffff8
	v_or_b32_e32 v6, s6, v1
	v_mov_b32_e32 v7, 0
	v_cmp_gt_i64_e32 vcc, s[0:1], v[6:7]
	s_and_saveexec_b64 s[0:1], vcc
	s_cbranch_execz .LBB6_33
; %bb.5:
	s_load_dwordx4 s[12:15], s[4:5], 0x18
	s_load_dwordx2 s[0:1], s[4:5], 0x38
	s_load_dwordx2 s[6:7], s[4:5], 0x50
	v_lshlrev_b32_e32 v10, 2, v6
	s_waitcnt lgkmcnt(0)
	global_load_dwordx2 v[8:9], v10, s[12:13]
	global_load_dwordx2 v[6:7], v10, s[0:1]
	global_load_dword v1, v10, s[6:7]
	s_waitcnt vmcnt(0)
	v_cmp_ge_i32_e32 vcc, v8, v9
	s_and_saveexec_b64 s[0:1], vcc
	s_xor_b64 s[0:1], exec, s[0:1]
	s_or_saveexec_b64 s[0:1], s[0:1]
	v_subrev_u32_e32 v12, s8, v8
	v_mov_b32_e32 v8, s2
	s_xor_b64 exec, exec, s[0:1]
	s_cbranch_execz .LBB6_7
; %bb.6:
	v_ashrrev_i32_e32 v13, 31, v12
	v_lshlrev_b64 v[10:11], 2, v[12:13]
	v_mov_b32_e32 v8, s15
	v_add_co_u32_e32 v10, vcc, s14, v10
	v_addc_co_u32_e32 v11, vcc, v8, v11, vcc
	global_load_dword v8, v[10:11], off
	s_waitcnt vmcnt(0)
	v_subrev_u32_e32 v8, s8, v8
.LBB6_7:
	s_or_b64 exec, exec, s[0:1]
	s_load_dwordx2 s[6:7], s[4:5], 0x40
	v_cmp_ge_i32_e32 vcc, v6, v7
	s_and_saveexec_b64 s[0:1], vcc
	s_xor_b64 s[0:1], exec, s[0:1]
	s_or_saveexec_b64 s[0:1], s[0:1]
	s_load_dwordx4 s[16:19], s[4:5], 0x58
	s_load_dwordx2 s[12:13], s[4:5], 0x48
	s_load_dwordx2 s[20:21], s[4:5], 0x28
	v_subrev_u32_e32 v14, s9, v6
	v_mov_b32_e32 v15, s2
	v_mov_b32_e32 v6, s2
	s_xor_b64 exec, exec, s[0:1]
	s_cbranch_execz .LBB6_9
; %bb.8:
	v_ashrrev_i32_e32 v15, 31, v14
	v_lshlrev_b64 v[10:11], 2, v[14:15]
	s_waitcnt lgkmcnt(0)
	v_mov_b32_e32 v6, s7
	v_add_co_u32_e32 v10, vcc, s6, v10
	v_addc_co_u32_e32 v11, vcc, v6, v11, vcc
	global_load_dword v6, v[10:11], off
	v_mov_b32_e32 v15, s2
	s_waitcnt vmcnt(0)
	v_subrev_u32_e32 v6, s9, v6
.LBB6_9:
	s_or_b64 exec, exec, s[0:1]
	v_subrev_u32_e32 v19, s9, v7
	v_mbcnt_lo_u32_b32 v7, -1, 0
	v_and_b32_e32 v10, 0xe0, v0
	v_subrev_u32_e32 v20, s10, v1
	v_and_b32_e32 v1, 31, v0
	v_mbcnt_hi_u32_b32 v7, -1, v7
	v_or_b32_e32 v16, 0x800, v10
	v_lshlrev_b32_e32 v17, 3, v10
	v_min_i32_e32 v10, v6, v8
	v_and_b32_e32 v8, 64, v7
	v_xor_b32_e32 v11, 31, v1
	v_add_u32_e32 v8, 64, v8
	v_lshrrev_b32_e64 v21, v11, -1
	v_xor_b32_e32 v11, 16, v7
	v_cmp_lt_i32_e32 vcc, v11, v8
	v_cndmask_b32_e32 v11, v7, v11, vcc
	v_lshlrev_b32_e32 v23, 2, v11
	v_xor_b32_e32 v11, 8, v7
	v_cmp_lt_i32_e32 vcc, v11, v8
	v_cndmask_b32_e32 v11, v7, v11, vcc
	v_lshlrev_b32_e32 v24, 2, v11
	;; [unrolled: 4-line block ×4, first 2 shown]
	v_xor_b32_e32 v11, 1, v7
	v_cmp_lt_i32_e32 vcc, v11, v8
	v_subrev_u32_e32 v18, s8, v9
	v_mov_b32_e32 v9, 0
	v_cndmask_b32_e32 v7, v7, v11, vcc
	v_add_u32_e32 v0, v12, v1
	v_add_u32_e32 v6, v14, v1
	v_lshl_or_b32 v14, v1, 3, v17
	v_add_u32_e32 v22, s10, v1
	v_lshlrev_b32_e32 v27, 2, v7
	s_mov_b64 s[4:5], 0
	v_add_u32_e32 v28, v16, v1
	v_mov_b32_e32 v12, v9
	v_mov_b32_e32 v13, v9
	v_mov_b32_e32 v29, 1
	s_branch .LBB6_11
.LBB6_10:                               ;   in Loop: Header=BB6_11 Depth=1
	s_or_b64 exec, exec, s[10:11]
	ds_bpermute_b32 v1, v23, v11
	s_bcnt1_i32_b64 s0, vcc
	v_add_u32_e32 v20, s0, v20
	s_waitcnt lgkmcnt(0)
	v_min_i32_e32 v1, v1, v11
	ds_bpermute_b32 v7, v24, v1
	s_waitcnt lgkmcnt(0)
	v_min_i32_e32 v1, v7, v1
	ds_bpermute_b32 v7, v25, v1
	s_waitcnt lgkmcnt(0)
	v_min_i32_e32 v1, v7, v1
	ds_bpermute_b32 v7, v26, v1
	s_waitcnt lgkmcnt(0)
	v_min_i32_e32 v1, v7, v1
	ds_bpermute_b32 v7, v27, v1
	s_waitcnt lgkmcnt(0)
	v_min_i32_e32 v10, v7, v1
	v_ashrrev_i32_e32 v11, 31, v10
	v_cmp_le_i64_e32 vcc, s[2:3], v[10:11]
	s_or_b64 s[4:5], vcc, s[4:5]
	s_andn2_b64 exec, exec, s[4:5]
	s_cbranch_execz .LBB6_33
.LBB6_11:                               ; =>This Loop Header: Depth=1
                                        ;     Child Loop BB6_14 Depth 2
                                        ;     Child Loop BB6_24 Depth 2
	v_cmp_lt_i32_e32 vcc, v0, v18
	v_mov_b32_e32 v11, v15
	ds_write_b8 v28, v9
	ds_write_b64 v14, v[12:13]
	s_waitcnt lgkmcnt(0)
	s_and_saveexec_b64 s[10:11], vcc
	s_cbranch_execz .LBB6_21
; %bb.12:                               ;   in Loop: Header=BB6_11 Depth=1
	s_mov_b64 s[22:23], 0
	v_mov_b32_e32 v11, v15
	s_branch .LBB6_14
.LBB6_13:                               ;   in Loop: Header=BB6_14 Depth=2
	s_or_b64 exec, exec, s[24:25]
	s_and_b64 s[0:1], exec, s[0:1]
	s_or_b64 s[22:23], s[0:1], s[22:23]
	s_andn2_b64 exec, exec, s[22:23]
	s_cbranch_execz .LBB6_20
.LBB6_14:                               ;   Parent Loop BB6_11 Depth=1
                                        ; =>  This Inner Loop Header: Depth=2
	v_ashrrev_i32_e32 v1, 31, v0
	v_lshlrev_b64 v[30:31], 2, v[0:1]
	v_mov_b32_e32 v7, s15
	v_add_co_u32_e32 v30, vcc, s14, v30
	v_addc_co_u32_e32 v31, vcc, v7, v31, vcc
	global_load_dword v7, v[30:31], off
	s_waitcnt vmcnt(0)
	v_subrev_u32_e32 v8, s8, v7
	v_sub_u32_e32 v7, v8, v10
	v_cmp_gt_u32_e32 vcc, 32, v7
	v_cmp_lt_u32_e64 s[0:1], 31, v7
	s_and_saveexec_b64 s[24:25], s[0:1]
	s_xor_b64 s[0:1], exec, s[24:25]
	s_cbranch_execnz .LBB6_17
; %bb.15:                               ;   in Loop: Header=BB6_14 Depth=2
	s_andn2_saveexec_b64 s[24:25], s[0:1]
	s_cbranch_execnz .LBB6_18
.LBB6_16:                               ;   in Loop: Header=BB6_14 Depth=2
	s_or_b64 exec, exec, s[24:25]
	s_mov_b64 s[0:1], -1
	s_and_saveexec_b64 s[24:25], vcc
	s_cbranch_execz .LBB6_13
	s_branch .LBB6_19
.LBB6_17:                               ;   in Loop: Header=BB6_14 Depth=2
	v_min_i32_e32 v11, v8, v11
                                        ; implicit-def: $vgpr7
	s_andn2_saveexec_b64 s[24:25], s[0:1]
	s_cbranch_execz .LBB6_16
.LBB6_18:                               ;   in Loop: Header=BB6_14 Depth=2
	v_lshlrev_b64 v[30:31], 3, v[0:1]
	v_mov_b32_e32 v1, s21
	v_add_co_u32_e64 v30, s[0:1], s20, v30
	v_addc_co_u32_e64 v31, s[0:1], v1, v31, s[0:1]
	global_load_dwordx2 v[30:31], v[30:31], off
	v_add_u32_e32 v1, v16, v7
	ds_write_b8 v1, v29
	v_lshl_add_u32 v1, v7, 3, v17
	s_waitcnt vmcnt(0)
	v_mul_f64 v[30:31], v[2:3], v[30:31]
	ds_write_b64 v1, v[30:31]
	s_or_b64 exec, exec, s[24:25]
	s_mov_b64 s[0:1], -1
	s_and_saveexec_b64 s[24:25], vcc
	s_cbranch_execz .LBB6_13
.LBB6_19:                               ;   in Loop: Header=BB6_14 Depth=2
	v_add_u32_e32 v0, 32, v0
	v_cmp_ge_i32_e32 vcc, v0, v18
	s_orn2_b64 s[0:1], vcc, exec
	s_branch .LBB6_13
.LBB6_20:                               ;   in Loop: Header=BB6_11 Depth=1
	s_or_b64 exec, exec, s[22:23]
.LBB6_21:                               ;   in Loop: Header=BB6_11 Depth=1
	s_or_b64 exec, exec, s[10:11]
	v_cmp_lt_i32_e32 vcc, v6, v19
	s_waitcnt lgkmcnt(0)
	s_and_saveexec_b64 s[10:11], vcc
	s_cbranch_execz .LBB6_31
; %bb.22:                               ;   in Loop: Header=BB6_11 Depth=1
	s_mov_b64 s[22:23], 0
	s_branch .LBB6_24
.LBB6_23:                               ;   in Loop: Header=BB6_24 Depth=2
	s_or_b64 exec, exec, s[24:25]
	s_and_b64 s[0:1], exec, s[0:1]
	s_or_b64 s[22:23], s[0:1], s[22:23]
	s_andn2_b64 exec, exec, s[22:23]
	s_cbranch_execz .LBB6_30
.LBB6_24:                               ;   Parent Loop BB6_11 Depth=1
                                        ; =>  This Inner Loop Header: Depth=2
	v_ashrrev_i32_e32 v7, 31, v6
	v_lshlrev_b64 v[30:31], 2, v[6:7]
	v_mov_b32_e32 v1, s7
	v_add_co_u32_e32 v30, vcc, s6, v30
	v_addc_co_u32_e32 v31, vcc, v1, v31, vcc
	global_load_dword v1, v[30:31], off
	s_waitcnt vmcnt(0)
	v_subrev_u32_e32 v8, s9, v1
	v_sub_u32_e32 v1, v8, v10
	v_cmp_gt_u32_e32 vcc, 32, v1
	v_cmp_lt_u32_e64 s[0:1], 31, v1
	s_and_saveexec_b64 s[24:25], s[0:1]
	s_xor_b64 s[0:1], exec, s[24:25]
	s_cbranch_execnz .LBB6_27
; %bb.25:                               ;   in Loop: Header=BB6_24 Depth=2
	s_andn2_saveexec_b64 s[24:25], s[0:1]
	s_cbranch_execnz .LBB6_28
.LBB6_26:                               ;   in Loop: Header=BB6_24 Depth=2
	s_or_b64 exec, exec, s[24:25]
	s_mov_b64 s[0:1], -1
	s_and_saveexec_b64 s[24:25], vcc
	s_cbranch_execz .LBB6_23
	s_branch .LBB6_29
.LBB6_27:                               ;   in Loop: Header=BB6_24 Depth=2
	v_min_i32_e32 v11, v8, v11
                                        ; implicit-def: $vgpr1
	s_andn2_saveexec_b64 s[24:25], s[0:1]
	s_cbranch_execz .LBB6_26
.LBB6_28:                               ;   in Loop: Header=BB6_24 Depth=2
	v_lshlrev_b64 v[30:31], 3, v[6:7]
	v_mov_b32_e32 v7, s13
	v_add_co_u32_e64 v30, s[0:1], s12, v30
	v_addc_co_u32_e64 v31, s[0:1], v7, v31, s[0:1]
	global_load_dwordx2 v[30:31], v[30:31], off
	v_lshl_add_u32 v7, v1, 3, v17
	ds_read_b64 v[32:33], v7
	v_add_u32_e32 v1, v16, v1
	ds_write_b8 v1, v29
	s_waitcnt vmcnt(0) lgkmcnt(1)
	v_fmac_f64_e32 v[32:33], v[4:5], v[30:31]
	ds_write_b64 v7, v[32:33]
	s_or_b64 exec, exec, s[24:25]
	s_mov_b64 s[0:1], -1
	s_and_saveexec_b64 s[24:25], vcc
	s_cbranch_execz .LBB6_23
.LBB6_29:                               ;   in Loop: Header=BB6_24 Depth=2
	v_add_u32_e32 v6, 32, v6
	v_cmp_ge_i32_e32 vcc, v6, v19
	s_orn2_b64 s[0:1], vcc, exec
	s_branch .LBB6_23
.LBB6_30:                               ;   in Loop: Header=BB6_11 Depth=1
	s_or_b64 exec, exec, s[22:23]
.LBB6_31:                               ;   in Loop: Header=BB6_11 Depth=1
	s_or_b64 exec, exec, s[10:11]
	s_waitcnt lgkmcnt(0)
	ds_read_u8 v1, v28
	s_waitcnt lgkmcnt(0)
	v_and_b32_e32 v7, 1, v1
	v_cmp_eq_u32_e64 s[0:1], 1, v7
	v_cmp_ne_u16_e32 vcc, 0, v1
	s_and_saveexec_b64 s[10:11], s[0:1]
	s_cbranch_execz .LBB6_10
; %bb.32:                               ;   in Loop: Header=BB6_11 Depth=1
	v_and_b32_e32 v1, vcc_lo, v21
	v_bcnt_u32_b32 v1, v1, 0
	v_add3_u32 v8, v20, v1, -1
	v_lshlrev_b64 v[30:31], 3, v[8:9]
	v_mov_b32_e32 v1, s19
	v_add_co_u32_e64 v30, s[0:1], s18, v30
	ds_read_b64 v[34:35], v14
	v_addc_co_u32_e64 v31, s[0:1], v1, v31, s[0:1]
	v_lshlrev_b64 v[32:33], 2, v[8:9]
	v_mov_b32_e32 v1, s17
	v_add_co_u32_e64 v32, s[0:1], s16, v32
	v_addc_co_u32_e64 v33, s[0:1], v1, v33, s[0:1]
	v_add_u32_e32 v1, v22, v10
	global_store_dword v[32:33], v1, off
	s_waitcnt lgkmcnt(0)
	global_store_dwordx2 v[30:31], v[34:35], off
	s_branch .LBB6_10
.LBB6_33:
	s_endpgm
	.section	.rodata,"a",@progbits
	.p2align	6, 0x0
	.amdhsa_kernel _ZN9rocsparseL29csrgeam_fill_multipass_kernelILj256ELj32EiidEEvllNS_24const_host_device_scalarIT3_EEPKT1_PKT2_PKS2_S3_S6_S9_SB_S6_PS7_PS2_21rocsparse_index_base_SE_SE_bbb
		.amdhsa_group_segment_fixed_size 2304
		.amdhsa_private_segment_fixed_size 0
		.amdhsa_kernarg_size 120
		.amdhsa_user_sgpr_count 6
		.amdhsa_user_sgpr_private_segment_buffer 1
		.amdhsa_user_sgpr_dispatch_ptr 0
		.amdhsa_user_sgpr_queue_ptr 0
		.amdhsa_user_sgpr_kernarg_segment_ptr 1
		.amdhsa_user_sgpr_dispatch_id 0
		.amdhsa_user_sgpr_flat_scratch_init 0
		.amdhsa_user_sgpr_kernarg_preload_length 0
		.amdhsa_user_sgpr_kernarg_preload_offset 0
		.amdhsa_user_sgpr_private_segment_size 0
		.amdhsa_uses_dynamic_stack 0
		.amdhsa_system_sgpr_private_segment_wavefront_offset 0
		.amdhsa_system_sgpr_workgroup_id_x 1
		.amdhsa_system_sgpr_workgroup_id_y 0
		.amdhsa_system_sgpr_workgroup_id_z 0
		.amdhsa_system_sgpr_workgroup_info 0
		.amdhsa_system_vgpr_workitem_id 0
		.amdhsa_next_free_vgpr 36
		.amdhsa_next_free_sgpr 26
		.amdhsa_accum_offset 36
		.amdhsa_reserve_vcc 1
		.amdhsa_reserve_flat_scratch 0
		.amdhsa_float_round_mode_32 0
		.amdhsa_float_round_mode_16_64 0
		.amdhsa_float_denorm_mode_32 3
		.amdhsa_float_denorm_mode_16_64 3
		.amdhsa_dx10_clamp 1
		.amdhsa_ieee_mode 1
		.amdhsa_fp16_overflow 0
		.amdhsa_tg_split 0
		.amdhsa_exception_fp_ieee_invalid_op 0
		.amdhsa_exception_fp_denorm_src 0
		.amdhsa_exception_fp_ieee_div_zero 0
		.amdhsa_exception_fp_ieee_overflow 0
		.amdhsa_exception_fp_ieee_underflow 0
		.amdhsa_exception_fp_ieee_inexact 0
		.amdhsa_exception_int_div_zero 0
	.end_amdhsa_kernel
	.section	.text._ZN9rocsparseL29csrgeam_fill_multipass_kernelILj256ELj32EiidEEvllNS_24const_host_device_scalarIT3_EEPKT1_PKT2_PKS2_S3_S6_S9_SB_S6_PS7_PS2_21rocsparse_index_base_SE_SE_bbb,"axG",@progbits,_ZN9rocsparseL29csrgeam_fill_multipass_kernelILj256ELj32EiidEEvllNS_24const_host_device_scalarIT3_EEPKT1_PKT2_PKS2_S3_S6_S9_SB_S6_PS7_PS2_21rocsparse_index_base_SE_SE_bbb,comdat
.Lfunc_end6:
	.size	_ZN9rocsparseL29csrgeam_fill_multipass_kernelILj256ELj32EiidEEvllNS_24const_host_device_scalarIT3_EEPKT1_PKT2_PKS2_S3_S6_S9_SB_S6_PS7_PS2_21rocsparse_index_base_SE_SE_bbb, .Lfunc_end6-_ZN9rocsparseL29csrgeam_fill_multipass_kernelILj256ELj32EiidEEvllNS_24const_host_device_scalarIT3_EEPKT1_PKT2_PKS2_S3_S6_S9_SB_S6_PS7_PS2_21rocsparse_index_base_SE_SE_bbb
                                        ; -- End function
	.section	.AMDGPU.csdata,"",@progbits
; Kernel info:
; codeLenInByte = 1504
; NumSgprs: 30
; NumVgprs: 36
; NumAgprs: 0
; TotalNumVgprs: 36
; ScratchSize: 0
; MemoryBound: 0
; FloatMode: 240
; IeeeMode: 1
; LDSByteSize: 2304 bytes/workgroup (compile time only)
; SGPRBlocks: 3
; VGPRBlocks: 4
; NumSGPRsForWavesPerEU: 30
; NumVGPRsForWavesPerEU: 36
; AccumOffset: 36
; Occupancy: 8
; WaveLimiterHint : 1
; COMPUTE_PGM_RSRC2:SCRATCH_EN: 0
; COMPUTE_PGM_RSRC2:USER_SGPR: 6
; COMPUTE_PGM_RSRC2:TRAP_HANDLER: 0
; COMPUTE_PGM_RSRC2:TGID_X_EN: 1
; COMPUTE_PGM_RSRC2:TGID_Y_EN: 0
; COMPUTE_PGM_RSRC2:TGID_Z_EN: 0
; COMPUTE_PGM_RSRC2:TIDIG_COMP_CNT: 0
; COMPUTE_PGM_RSRC3_GFX90A:ACCUM_OFFSET: 8
; COMPUTE_PGM_RSRC3_GFX90A:TG_SPLIT: 0
	.section	.text._ZN9rocsparseL29csrgeam_fill_multipass_kernelILj256ELj64EiidEEvllNS_24const_host_device_scalarIT3_EEPKT1_PKT2_PKS2_S3_S6_S9_SB_S6_PS7_PS2_21rocsparse_index_base_SE_SE_bbb,"axG",@progbits,_ZN9rocsparseL29csrgeam_fill_multipass_kernelILj256ELj64EiidEEvllNS_24const_host_device_scalarIT3_EEPKT1_PKT2_PKS2_S3_S6_S9_SB_S6_PS7_PS2_21rocsparse_index_base_SE_SE_bbb,comdat
	.globl	_ZN9rocsparseL29csrgeam_fill_multipass_kernelILj256ELj64EiidEEvllNS_24const_host_device_scalarIT3_EEPKT1_PKT2_PKS2_S3_S6_S9_SB_S6_PS7_PS2_21rocsparse_index_base_SE_SE_bbb ; -- Begin function _ZN9rocsparseL29csrgeam_fill_multipass_kernelILj256ELj64EiidEEvllNS_24const_host_device_scalarIT3_EEPKT1_PKT2_PKS2_S3_S6_S9_SB_S6_PS7_PS2_21rocsparse_index_base_SE_SE_bbb
	.p2align	8
	.type	_ZN9rocsparseL29csrgeam_fill_multipass_kernelILj256ELj64EiidEEvllNS_24const_host_device_scalarIT3_EEPKT1_PKT2_PKS2_S3_S6_S9_SB_S6_PS7_PS2_21rocsparse_index_base_SE_SE_bbb,@function
_ZN9rocsparseL29csrgeam_fill_multipass_kernelILj256ELj64EiidEEvllNS_24const_host_device_scalarIT3_EEPKT1_PKT2_PKS2_S3_S6_S9_SB_S6_PS7_PS2_21rocsparse_index_base_SE_SE_bbb: ; @_ZN9rocsparseL29csrgeam_fill_multipass_kernelILj256ELj64EiidEEvllNS_24const_host_device_scalarIT3_EEPKT1_PKT2_PKS2_S3_S6_S9_SB_S6_PS7_PS2_21rocsparse_index_base_SE_SE_bbb
; %bb.0:
	s_load_dwordx4 s[8:11], s[4:5], 0x68
	s_load_dword s7, s[4:5], 0x74
	s_load_dwordx2 s[12:13], s[4:5], 0x30
	s_load_dwordx4 s[0:3], s[4:5], 0x0
	s_load_dwordx2 s[16:17], s[4:5], 0x10
	s_waitcnt lgkmcnt(0)
	s_and_b32 s11, 1, s11
	s_bitcmp1_b32 s7, 16
	s_cselect_b64 s[14:15], -1, 0
	s_cmp_eq_u32 s11, 1
	s_cselect_b64 s[18:19], -1, 0
	s_and_b64 s[20:21], s[18:19], exec
	s_cselect_b32 s21, s17, 0
	s_cselect_b32 s20, s16, 0
	s_xor_b64 s[18:19], s[18:19], -1
	s_or_b64 s[18:19], s[18:19], s[14:15]
	s_and_b64 vcc, exec, s[18:19]
	v_pk_mov_b32 v[2:3], s[20:21], s[20:21] op_sel:[0,1]
	s_cbranch_vccnz .LBB7_2
; %bb.1:
	v_pk_mov_b32 v[2:3], s[16:17], s[16:17] op_sel:[0,1]
	flat_load_dwordx2 v[2:3], v[2:3]
.LBB7_2:
	s_bitcmp1_b32 s7, 8
	s_cselect_b64 s[16:17], -1, 0
	s_and_b64 s[18:19], s[16:17], exec
	s_cselect_b32 s19, s13, 0
	s_cselect_b32 s18, s12, 0
	s_xor_b64 s[16:17], s[16:17], -1
	s_or_b64 s[14:15], s[16:17], s[14:15]
	s_and_b64 vcc, exec, s[14:15]
	v_pk_mov_b32 v[4:5], s[18:19], s[18:19] op_sel:[0,1]
	s_cbranch_vccnz .LBB7_4
; %bb.3:
	v_pk_mov_b32 v[4:5], s[12:13], s[12:13] op_sel:[0,1]
	flat_load_dwordx2 v[4:5], v[4:5]
.LBB7_4:
	s_lshl_b32 s6, s6, 2
	v_lshrrev_b32_e32 v1, 6, v0
	s_and_b32 s6, s6, 0x3fffffc
	v_or_b32_e32 v6, s6, v1
	v_mov_b32_e32 v7, 0
	v_cmp_gt_i64_e32 vcc, s[0:1], v[6:7]
	s_and_saveexec_b64 s[0:1], vcc
	s_cbranch_execz .LBB7_33
; %bb.5:
	s_load_dwordx4 s[12:15], s[4:5], 0x18
	s_load_dwordx2 s[0:1], s[4:5], 0x38
	s_load_dwordx2 s[6:7], s[4:5], 0x50
	v_lshlrev_b32_e32 v10, 2, v6
	s_waitcnt lgkmcnt(0)
	global_load_dwordx2 v[8:9], v10, s[12:13]
	global_load_dwordx2 v[6:7], v10, s[0:1]
	global_load_dword v1, v10, s[6:7]
	s_waitcnt vmcnt(0)
	v_cmp_ge_i32_e32 vcc, v8, v9
	s_and_saveexec_b64 s[0:1], vcc
	s_xor_b64 s[0:1], exec, s[0:1]
	s_or_saveexec_b64 s[0:1], s[0:1]
	v_subrev_u32_e32 v10, s8, v8
	v_mov_b32_e32 v8, s2
	s_xor_b64 exec, exec, s[0:1]
	s_cbranch_execz .LBB7_7
; %bb.6:
	v_ashrrev_i32_e32 v11, 31, v10
	v_lshlrev_b64 v[12:13], 2, v[10:11]
	v_mov_b32_e32 v8, s15
	v_add_co_u32_e32 v12, vcc, s14, v12
	v_addc_co_u32_e32 v13, vcc, v8, v13, vcc
	global_load_dword v8, v[12:13], off
	s_waitcnt vmcnt(0)
	v_subrev_u32_e32 v8, s8, v8
.LBB7_7:
	s_or_b64 exec, exec, s[0:1]
	s_load_dwordx2 s[6:7], s[4:5], 0x40
	v_cmp_ge_i32_e32 vcc, v6, v7
	s_and_saveexec_b64 s[0:1], vcc
	s_xor_b64 s[0:1], exec, s[0:1]
	s_or_saveexec_b64 s[0:1], s[0:1]
	s_load_dwordx4 s[16:19], s[4:5], 0x58
	s_load_dwordx2 s[12:13], s[4:5], 0x48
	s_load_dwordx2 s[20:21], s[4:5], 0x28
	v_subrev_u32_e32 v14, s9, v6
	v_mov_b32_e32 v16, s2
	v_mov_b32_e32 v6, s2
	s_xor_b64 exec, exec, s[0:1]
	s_cbranch_execz .LBB7_9
; %bb.8:
	v_ashrrev_i32_e32 v15, 31, v14
	v_lshlrev_b64 v[12:13], 2, v[14:15]
	s_waitcnt lgkmcnt(0)
	v_mov_b32_e32 v6, s7
	v_add_co_u32_e32 v12, vcc, s6, v12
	v_addc_co_u32_e32 v13, vcc, v6, v13, vcc
	global_load_dword v6, v[12:13], off
	v_mov_b32_e32 v16, s2
	s_waitcnt vmcnt(0)
	v_subrev_u32_e32 v6, s9, v6
.LBB7_9:
	s_or_b64 exec, exec, s[0:1]
	v_subrev_u32_e32 v20, s9, v7
	v_mbcnt_lo_u32_b32 v7, -1, 0
	v_mbcnt_hi_u32_b32 v7, -1, v7
	v_min_i32_e32 v12, v6, v8
	v_and_b32_e32 v8, 64, v7
	v_add_u32_e32 v8, 64, v8
	v_xor_b32_e32 v13, 32, v7
	v_cmp_lt_i32_e32 vcc, v13, v8
	v_cndmask_b32_e32 v13, v7, v13, vcc
	v_lshlrev_b32_e32 v24, 2, v13
	v_xor_b32_e32 v13, 16, v7
	v_cmp_lt_i32_e32 vcc, v13, v8
	v_cndmask_b32_e32 v13, v7, v13, vcc
	v_lshlrev_b32_e32 v25, 2, v13
	;; [unrolled: 4-line block ×5, first 2 shown]
	v_xor_b32_e32 v13, 1, v7
	v_and_b32_e32 v11, 0xc0, v0
	v_subrev_u32_e32 v21, s10, v1
	v_and_b32_e32 v1, 63, v0
	v_cmp_lt_i32_e32 vcc, v13, v8
	v_or_b32_e32 v17, 0x800, v11
	v_lshlrev_b32_e32 v18, 3, v11
	v_subrev_u32_e32 v19, s8, v9
	v_add_u32_e32 v0, v10, v1
	v_mov_b32_e32 v9, 0
	v_xor_b32_e32 v10, 63, v1
	v_cndmask_b32_e32 v7, v7, v13, vcc
	v_add_u32_e32 v6, v14, v1
	v_lshl_or_b32 v22, v1, 3, v18
	v_lshrrev_b64 v[10:11], v10, -1
	v_add_u32_e32 v23, s10, v1
	v_lshlrev_b32_e32 v29, 2, v7
	s_mov_b64 s[4:5], 0
	v_add_u32_e32 v30, v17, v1
	v_mov_b32_e32 v14, v9
	v_mov_b32_e32 v15, v9
	;; [unrolled: 1-line block ×3, first 2 shown]
	s_branch .LBB7_11
.LBB7_10:                               ;   in Loop: Header=BB7_11 Depth=1
	s_or_b64 exec, exec, s[10:11]
	ds_bpermute_b32 v1, v24, v13
	s_bcnt1_i32_b64 s0, vcc
	v_add_u32_e32 v21, s0, v21
	s_waitcnt lgkmcnt(0)
	v_min_i32_e32 v1, v1, v13
	ds_bpermute_b32 v7, v25, v1
	s_waitcnt lgkmcnt(0)
	v_min_i32_e32 v1, v7, v1
	ds_bpermute_b32 v7, v26, v1
	;; [unrolled: 3-line block ×5, first 2 shown]
	s_waitcnt lgkmcnt(0)
	v_min_i32_e32 v12, v7, v1
	v_ashrrev_i32_e32 v13, 31, v12
	v_cmp_le_i64_e32 vcc, s[2:3], v[12:13]
	s_or_b64 s[4:5], vcc, s[4:5]
	s_andn2_b64 exec, exec, s[4:5]
	s_cbranch_execz .LBB7_33
.LBB7_11:                               ; =>This Loop Header: Depth=1
                                        ;     Child Loop BB7_14 Depth 2
                                        ;     Child Loop BB7_24 Depth 2
	v_cmp_lt_i32_e32 vcc, v0, v19
	v_mov_b32_e32 v13, v16
	ds_write_b8 v30, v9
	ds_write_b64 v22, v[14:15]
	s_waitcnt lgkmcnt(0)
	s_and_saveexec_b64 s[10:11], vcc
	s_cbranch_execz .LBB7_21
; %bb.12:                               ;   in Loop: Header=BB7_11 Depth=1
	s_mov_b64 s[22:23], 0
	v_mov_b32_e32 v13, v16
	s_branch .LBB7_14
.LBB7_13:                               ;   in Loop: Header=BB7_14 Depth=2
	s_or_b64 exec, exec, s[24:25]
	s_and_b64 s[0:1], exec, s[0:1]
	s_or_b64 s[22:23], s[0:1], s[22:23]
	s_andn2_b64 exec, exec, s[22:23]
	s_cbranch_execz .LBB7_20
.LBB7_14:                               ;   Parent Loop BB7_11 Depth=1
                                        ; =>  This Inner Loop Header: Depth=2
	v_ashrrev_i32_e32 v1, 31, v0
	v_lshlrev_b64 v[32:33], 2, v[0:1]
	v_mov_b32_e32 v7, s15
	v_add_co_u32_e32 v32, vcc, s14, v32
	v_addc_co_u32_e32 v33, vcc, v7, v33, vcc
	global_load_dword v7, v[32:33], off
	s_waitcnt vmcnt(0)
	v_subrev_u32_e32 v8, s8, v7
	v_sub_u32_e32 v7, v8, v12
	v_cmp_gt_u32_e32 vcc, 64, v7
	v_cmp_lt_u32_e64 s[0:1], 63, v7
	s_and_saveexec_b64 s[24:25], s[0:1]
	s_xor_b64 s[0:1], exec, s[24:25]
	s_cbranch_execnz .LBB7_17
; %bb.15:                               ;   in Loop: Header=BB7_14 Depth=2
	s_andn2_saveexec_b64 s[24:25], s[0:1]
	s_cbranch_execnz .LBB7_18
.LBB7_16:                               ;   in Loop: Header=BB7_14 Depth=2
	s_or_b64 exec, exec, s[24:25]
	s_mov_b64 s[0:1], -1
	s_and_saveexec_b64 s[24:25], vcc
	s_cbranch_execz .LBB7_13
	s_branch .LBB7_19
.LBB7_17:                               ;   in Loop: Header=BB7_14 Depth=2
	v_min_i32_e32 v13, v8, v13
                                        ; implicit-def: $vgpr7
	s_andn2_saveexec_b64 s[24:25], s[0:1]
	s_cbranch_execz .LBB7_16
.LBB7_18:                               ;   in Loop: Header=BB7_14 Depth=2
	v_lshlrev_b64 v[32:33], 3, v[0:1]
	v_mov_b32_e32 v1, s21
	v_add_co_u32_e64 v32, s[0:1], s20, v32
	v_addc_co_u32_e64 v33, s[0:1], v1, v33, s[0:1]
	global_load_dwordx2 v[32:33], v[32:33], off
	v_add_u32_e32 v1, v17, v7
	ds_write_b8 v1, v31
	v_lshl_add_u32 v1, v7, 3, v18
	s_waitcnt vmcnt(0)
	v_mul_f64 v[32:33], v[2:3], v[32:33]
	ds_write_b64 v1, v[32:33]
	s_or_b64 exec, exec, s[24:25]
	s_mov_b64 s[0:1], -1
	s_and_saveexec_b64 s[24:25], vcc
	s_cbranch_execz .LBB7_13
.LBB7_19:                               ;   in Loop: Header=BB7_14 Depth=2
	v_add_u32_e32 v0, 64, v0
	v_cmp_ge_i32_e32 vcc, v0, v19
	s_orn2_b64 s[0:1], vcc, exec
	s_branch .LBB7_13
.LBB7_20:                               ;   in Loop: Header=BB7_11 Depth=1
	s_or_b64 exec, exec, s[22:23]
.LBB7_21:                               ;   in Loop: Header=BB7_11 Depth=1
	s_or_b64 exec, exec, s[10:11]
	v_cmp_lt_i32_e32 vcc, v6, v20
	s_waitcnt lgkmcnt(0)
	s_and_saveexec_b64 s[10:11], vcc
	s_cbranch_execz .LBB7_31
; %bb.22:                               ;   in Loop: Header=BB7_11 Depth=1
	s_mov_b64 s[22:23], 0
	s_branch .LBB7_24
.LBB7_23:                               ;   in Loop: Header=BB7_24 Depth=2
	s_or_b64 exec, exec, s[24:25]
	s_and_b64 s[0:1], exec, s[0:1]
	s_or_b64 s[22:23], s[0:1], s[22:23]
	s_andn2_b64 exec, exec, s[22:23]
	s_cbranch_execz .LBB7_30
.LBB7_24:                               ;   Parent Loop BB7_11 Depth=1
                                        ; =>  This Inner Loop Header: Depth=2
	v_ashrrev_i32_e32 v7, 31, v6
	v_lshlrev_b64 v[32:33], 2, v[6:7]
	v_mov_b32_e32 v1, s7
	v_add_co_u32_e32 v32, vcc, s6, v32
	v_addc_co_u32_e32 v33, vcc, v1, v33, vcc
	global_load_dword v1, v[32:33], off
	s_waitcnt vmcnt(0)
	v_subrev_u32_e32 v8, s9, v1
	v_sub_u32_e32 v1, v8, v12
	v_cmp_gt_u32_e32 vcc, 64, v1
	v_cmp_lt_u32_e64 s[0:1], 63, v1
	s_and_saveexec_b64 s[24:25], s[0:1]
	s_xor_b64 s[0:1], exec, s[24:25]
	s_cbranch_execnz .LBB7_27
; %bb.25:                               ;   in Loop: Header=BB7_24 Depth=2
	s_andn2_saveexec_b64 s[24:25], s[0:1]
	s_cbranch_execnz .LBB7_28
.LBB7_26:                               ;   in Loop: Header=BB7_24 Depth=2
	s_or_b64 exec, exec, s[24:25]
	s_mov_b64 s[0:1], -1
	s_and_saveexec_b64 s[24:25], vcc
	s_cbranch_execz .LBB7_23
	s_branch .LBB7_29
.LBB7_27:                               ;   in Loop: Header=BB7_24 Depth=2
	v_min_i32_e32 v13, v8, v13
                                        ; implicit-def: $vgpr1
	s_andn2_saveexec_b64 s[24:25], s[0:1]
	s_cbranch_execz .LBB7_26
.LBB7_28:                               ;   in Loop: Header=BB7_24 Depth=2
	v_lshlrev_b64 v[32:33], 3, v[6:7]
	v_mov_b32_e32 v7, s13
	v_add_co_u32_e64 v32, s[0:1], s12, v32
	v_addc_co_u32_e64 v33, s[0:1], v7, v33, s[0:1]
	global_load_dwordx2 v[32:33], v[32:33], off
	v_lshl_add_u32 v7, v1, 3, v18
	ds_read_b64 v[34:35], v7
	v_add_u32_e32 v1, v17, v1
	ds_write_b8 v1, v31
	s_waitcnt vmcnt(0) lgkmcnt(1)
	v_fmac_f64_e32 v[34:35], v[4:5], v[32:33]
	ds_write_b64 v7, v[34:35]
	s_or_b64 exec, exec, s[24:25]
	s_mov_b64 s[0:1], -1
	s_and_saveexec_b64 s[24:25], vcc
	s_cbranch_execz .LBB7_23
.LBB7_29:                               ;   in Loop: Header=BB7_24 Depth=2
	v_add_u32_e32 v6, 64, v6
	v_cmp_ge_i32_e32 vcc, v6, v20
	s_orn2_b64 s[0:1], vcc, exec
	s_branch .LBB7_23
.LBB7_30:                               ;   in Loop: Header=BB7_11 Depth=1
	s_or_b64 exec, exec, s[22:23]
.LBB7_31:                               ;   in Loop: Header=BB7_11 Depth=1
	s_or_b64 exec, exec, s[10:11]
	s_waitcnt lgkmcnt(0)
	ds_read_u8 v1, v30
	s_waitcnt lgkmcnt(0)
	v_and_b32_e32 v7, 1, v1
	v_cmp_eq_u32_e64 s[0:1], 1, v7
	v_cmp_ne_u16_e32 vcc, 0, v1
	s_and_saveexec_b64 s[10:11], s[0:1]
	s_cbranch_execz .LBB7_10
; %bb.32:                               ;   in Loop: Header=BB7_11 Depth=1
	v_and_b32_e32 v7, vcc_lo, v10
	v_and_b32_e32 v1, vcc_hi, v11
	v_bcnt_u32_b32 v7, v7, 0
	v_bcnt_u32_b32 v1, v1, v7
	v_add3_u32 v8, v21, v1, -1
	v_lshlrev_b64 v[32:33], 2, v[8:9]
	v_mov_b32_e32 v1, s17
	v_add_co_u32_e64 v32, s[0:1], s16, v32
	v_add_u32_e32 v7, v23, v12
	v_addc_co_u32_e64 v33, s[0:1], v1, v33, s[0:1]
	global_store_dword v[32:33], v7, off
	ds_read_b64 v[32:33], v22
	v_lshlrev_b64 v[34:35], 3, v[8:9]
	v_mov_b32_e32 v1, s19
	v_add_co_u32_e64 v34, s[0:1], s18, v34
	v_addc_co_u32_e64 v35, s[0:1], v1, v35, s[0:1]
	s_waitcnt lgkmcnt(0)
	global_store_dwordx2 v[34:35], v[32:33], off
	s_branch .LBB7_10
.LBB7_33:
	s_endpgm
	.section	.rodata,"a",@progbits
	.p2align	6, 0x0
	.amdhsa_kernel _ZN9rocsparseL29csrgeam_fill_multipass_kernelILj256ELj64EiidEEvllNS_24const_host_device_scalarIT3_EEPKT1_PKT2_PKS2_S3_S6_S9_SB_S6_PS7_PS2_21rocsparse_index_base_SE_SE_bbb
		.amdhsa_group_segment_fixed_size 2304
		.amdhsa_private_segment_fixed_size 0
		.amdhsa_kernarg_size 120
		.amdhsa_user_sgpr_count 6
		.amdhsa_user_sgpr_private_segment_buffer 1
		.amdhsa_user_sgpr_dispatch_ptr 0
		.amdhsa_user_sgpr_queue_ptr 0
		.amdhsa_user_sgpr_kernarg_segment_ptr 1
		.amdhsa_user_sgpr_dispatch_id 0
		.amdhsa_user_sgpr_flat_scratch_init 0
		.amdhsa_user_sgpr_kernarg_preload_length 0
		.amdhsa_user_sgpr_kernarg_preload_offset 0
		.amdhsa_user_sgpr_private_segment_size 0
		.amdhsa_uses_dynamic_stack 0
		.amdhsa_system_sgpr_private_segment_wavefront_offset 0
		.amdhsa_system_sgpr_workgroup_id_x 1
		.amdhsa_system_sgpr_workgroup_id_y 0
		.amdhsa_system_sgpr_workgroup_id_z 0
		.amdhsa_system_sgpr_workgroup_info 0
		.amdhsa_system_vgpr_workitem_id 0
		.amdhsa_next_free_vgpr 36
		.amdhsa_next_free_sgpr 26
		.amdhsa_accum_offset 36
		.amdhsa_reserve_vcc 1
		.amdhsa_reserve_flat_scratch 0
		.amdhsa_float_round_mode_32 0
		.amdhsa_float_round_mode_16_64 0
		.amdhsa_float_denorm_mode_32 3
		.amdhsa_float_denorm_mode_16_64 3
		.amdhsa_dx10_clamp 1
		.amdhsa_ieee_mode 1
		.amdhsa_fp16_overflow 0
		.amdhsa_tg_split 0
		.amdhsa_exception_fp_ieee_invalid_op 0
		.amdhsa_exception_fp_denorm_src 0
		.amdhsa_exception_fp_ieee_div_zero 0
		.amdhsa_exception_fp_ieee_overflow 0
		.amdhsa_exception_fp_ieee_underflow 0
		.amdhsa_exception_fp_ieee_inexact 0
		.amdhsa_exception_int_div_zero 0
	.end_amdhsa_kernel
	.section	.text._ZN9rocsparseL29csrgeam_fill_multipass_kernelILj256ELj64EiidEEvllNS_24const_host_device_scalarIT3_EEPKT1_PKT2_PKS2_S3_S6_S9_SB_S6_PS7_PS2_21rocsparse_index_base_SE_SE_bbb,"axG",@progbits,_ZN9rocsparseL29csrgeam_fill_multipass_kernelILj256ELj64EiidEEvllNS_24const_host_device_scalarIT3_EEPKT1_PKT2_PKS2_S3_S6_S9_SB_S6_PS7_PS2_21rocsparse_index_base_SE_SE_bbb,comdat
.Lfunc_end7:
	.size	_ZN9rocsparseL29csrgeam_fill_multipass_kernelILj256ELj64EiidEEvllNS_24const_host_device_scalarIT3_EEPKT1_PKT2_PKS2_S3_S6_S9_SB_S6_PS7_PS2_21rocsparse_index_base_SE_SE_bbb, .Lfunc_end7-_ZN9rocsparseL29csrgeam_fill_multipass_kernelILj256ELj64EiidEEvllNS_24const_host_device_scalarIT3_EEPKT1_PKT2_PKS2_S3_S6_S9_SB_S6_PS7_PS2_21rocsparse_index_base_SE_SE_bbb
                                        ; -- End function
	.section	.AMDGPU.csdata,"",@progbits
; Kernel info:
; codeLenInByte = 1548
; NumSgprs: 30
; NumVgprs: 36
; NumAgprs: 0
; TotalNumVgprs: 36
; ScratchSize: 0
; MemoryBound: 0
; FloatMode: 240
; IeeeMode: 1
; LDSByteSize: 2304 bytes/workgroup (compile time only)
; SGPRBlocks: 3
; VGPRBlocks: 4
; NumSGPRsForWavesPerEU: 30
; NumVGPRsForWavesPerEU: 36
; AccumOffset: 36
; Occupancy: 8
; WaveLimiterHint : 1
; COMPUTE_PGM_RSRC2:SCRATCH_EN: 0
; COMPUTE_PGM_RSRC2:USER_SGPR: 6
; COMPUTE_PGM_RSRC2:TRAP_HANDLER: 0
; COMPUTE_PGM_RSRC2:TGID_X_EN: 1
; COMPUTE_PGM_RSRC2:TGID_Y_EN: 0
; COMPUTE_PGM_RSRC2:TGID_Z_EN: 0
; COMPUTE_PGM_RSRC2:TIDIG_COMP_CNT: 0
; COMPUTE_PGM_RSRC3_GFX90A:ACCUM_OFFSET: 8
; COMPUTE_PGM_RSRC3_GFX90A:TG_SPLIT: 0
	.section	.text._ZN9rocsparseL29csrgeam_fill_multipass_kernelILj256ELj32ElidEEvllNS_24const_host_device_scalarIT3_EEPKT1_PKT2_PKS2_S3_S6_S9_SB_S6_PS7_PS2_21rocsparse_index_base_SE_SE_bbb,"axG",@progbits,_ZN9rocsparseL29csrgeam_fill_multipass_kernelILj256ELj32ElidEEvllNS_24const_host_device_scalarIT3_EEPKT1_PKT2_PKS2_S3_S6_S9_SB_S6_PS7_PS2_21rocsparse_index_base_SE_SE_bbb,comdat
	.globl	_ZN9rocsparseL29csrgeam_fill_multipass_kernelILj256ELj32ElidEEvllNS_24const_host_device_scalarIT3_EEPKT1_PKT2_PKS2_S3_S6_S9_SB_S6_PS7_PS2_21rocsparse_index_base_SE_SE_bbb ; -- Begin function _ZN9rocsparseL29csrgeam_fill_multipass_kernelILj256ELj32ElidEEvllNS_24const_host_device_scalarIT3_EEPKT1_PKT2_PKS2_S3_S6_S9_SB_S6_PS7_PS2_21rocsparse_index_base_SE_SE_bbb
	.p2align	8
	.type	_ZN9rocsparseL29csrgeam_fill_multipass_kernelILj256ELj32ElidEEvllNS_24const_host_device_scalarIT3_EEPKT1_PKT2_PKS2_S3_S6_S9_SB_S6_PS7_PS2_21rocsparse_index_base_SE_SE_bbb,@function
_ZN9rocsparseL29csrgeam_fill_multipass_kernelILj256ELj32ElidEEvllNS_24const_host_device_scalarIT3_EEPKT1_PKT2_PKS2_S3_S6_S9_SB_S6_PS7_PS2_21rocsparse_index_base_SE_SE_bbb: ; @_ZN9rocsparseL29csrgeam_fill_multipass_kernelILj256ELj32ElidEEvllNS_24const_host_device_scalarIT3_EEPKT1_PKT2_PKS2_S3_S6_S9_SB_S6_PS7_PS2_21rocsparse_index_base_SE_SE_bbb
; %bb.0:
	s_load_dwordx4 s[8:11], s[4:5], 0x68
	s_load_dword s7, s[4:5], 0x74
	s_load_dwordx2 s[12:13], s[4:5], 0x30
	s_load_dwordx4 s[0:3], s[4:5], 0x0
	s_load_dwordx2 s[16:17], s[4:5], 0x10
	s_waitcnt lgkmcnt(0)
	s_and_b32 s11, 1, s11
	s_bitcmp1_b32 s7, 16
	s_cselect_b64 s[14:15], -1, 0
	s_cmp_eq_u32 s11, 1
	s_cselect_b64 s[18:19], -1, 0
	s_and_b64 s[20:21], s[18:19], exec
	s_cselect_b32 s21, s17, 0
	s_cselect_b32 s20, s16, 0
	s_xor_b64 s[18:19], s[18:19], -1
	s_or_b64 s[18:19], s[18:19], s[14:15]
	s_and_b64 vcc, exec, s[18:19]
	v_pk_mov_b32 v[10:11], s[20:21], s[20:21] op_sel:[0,1]
	s_cbranch_vccnz .LBB8_2
; %bb.1:
	v_pk_mov_b32 v[2:3], s[16:17], s[16:17] op_sel:[0,1]
	flat_load_dwordx2 v[10:11], v[2:3]
.LBB8_2:
	s_bitcmp1_b32 s7, 8
	s_cselect_b64 s[16:17], -1, 0
	s_and_b64 s[18:19], s[16:17], exec
	s_cselect_b32 s19, s13, 0
	s_cselect_b32 s18, s12, 0
	s_xor_b64 s[16:17], s[16:17], -1
	s_or_b64 s[14:15], s[16:17], s[14:15]
	s_and_b64 vcc, exec, s[14:15]
	v_pk_mov_b32 v[12:13], s[18:19], s[18:19] op_sel:[0,1]
	s_cbranch_vccnz .LBB8_4
; %bb.3:
	v_pk_mov_b32 v[2:3], s[12:13], s[12:13] op_sel:[0,1]
	flat_load_dwordx2 v[12:13], v[2:3]
.LBB8_4:
	s_lshl_b32 s6, s6, 3
	v_lshrrev_b32_e32 v1, 5, v0
	s_and_b32 s6, s6, 0x7fffff8
	v_or_b32_e32 v2, s6, v1
	v_mov_b32_e32 v3, 0
	v_cmp_gt_i64_e32 vcc, s[0:1], v[2:3]
	s_and_saveexec_b64 s[0:1], vcc
	s_cbranch_execz .LBB8_33
; %bb.5:
	s_load_dwordx4 s[12:15], s[4:5], 0x18
	s_load_dwordx2 s[0:1], s[4:5], 0x50
	s_load_dwordx2 s[6:7], s[4:5], 0x38
	v_lshlrev_b32_e32 v1, 3, v2
	s_mov_b32 s22, 0
	s_mov_b32 s11, s8
	s_waitcnt lgkmcnt(0)
	global_load_dwordx4 v[2:5], v1, s[12:13]
	global_load_dwordx4 v[6:9], v1, s[6:7]
	global_load_dwordx2 v[16:17], v1, s[0:1]
	s_waitcnt vmcnt(0)
	v_subrev_co_u32_e32 v14, vcc, s8, v2
	v_subbrev_co_u32_e32 v15, vcc, 0, v3, vcc
	v_cmp_ge_i64_e32 vcc, v[2:3], v[4:5]
	s_and_saveexec_b64 s[0:1], vcc
	s_xor_b64 s[0:1], exec, s[0:1]
	s_or_saveexec_b64 s[0:1], s[0:1]
	v_mov_b32_e32 v18, s2
	s_xor_b64 exec, exec, s[0:1]
	s_cbranch_execz .LBB8_7
; %bb.6:
	v_lshlrev_b64 v[2:3], 2, v[14:15]
	v_mov_b32_e32 v1, s15
	v_add_co_u32_e32 v2, vcc, s14, v2
	v_addc_co_u32_e32 v3, vcc, v1, v3, vcc
	global_load_dword v1, v[2:3], off
	s_waitcnt vmcnt(0)
	v_subrev_u32_e32 v18, s8, v1
.LBB8_7:
	s_or_b64 exec, exec, s[0:1]
	s_load_dwordx4 s[16:19], s[4:5], 0x58
	s_load_dwordx2 s[6:7], s[4:5], 0x40
	v_subrev_co_u32_e32 v20, vcc, s9, v6
	v_subbrev_co_u32_e32 v21, vcc, 0, v7, vcc
	s_mov_b32 s23, 0
	s_mov_b32 s24, s9
	v_cmp_ge_i64_e32 vcc, v[6:7], v[8:9]
	s_and_saveexec_b64 s[0:1], vcc
	s_xor_b64 s[0:1], exec, s[0:1]
	s_or_saveexec_b64 s[0:1], s[0:1]
	s_load_dwordx2 s[12:13], s[4:5], 0x48
	s_load_dwordx2 s[20:21], s[4:5], 0x28
	v_mov_b32_e32 v7, s2
	v_mov_b32_e32 v19, s2
	s_xor_b64 exec, exec, s[0:1]
	s_cbranch_execz .LBB8_9
; %bb.8:
	v_lshlrev_b64 v[2:3], 2, v[20:21]
	s_waitcnt lgkmcnt(0)
	v_mov_b32_e32 v1, s7
	v_add_co_u32_e32 v2, vcc, s6, v2
	v_addc_co_u32_e32 v3, vcc, v1, v3, vcc
	global_load_dword v1, v[2:3], off
	v_mov_b32_e32 v7, s2
	s_waitcnt vmcnt(0)
	v_subrev_u32_e32 v19, s9, v1
.LBB8_9:
	s_or_b64 exec, exec, s[0:1]
	v_and_b32_e32 v1, 0xe0, v0
	v_or_b32_e32 v24, 0x800, v1
	v_lshlrev_b32_e32 v25, 3, v1
	v_mov_b32_e32 v1, s22
	v_subrev_co_u32_e32 v2, vcc, s11, v4
	v_subb_co_u32_e32 v3, vcc, v5, v1, vcc
	v_mov_b32_e32 v1, s23
	v_subrev_co_u32_e32 v4, vcc, s24, v8
	v_subb_co_u32_e32 v5, vcc, v9, v1, vcc
	v_subrev_co_u32_e32 v6, vcc, s10, v16
	v_subbrev_co_u32_e32 v1, vcc, 0, v17, vcc
	v_and_b32_e32 v9, 31, v0
	v_add_co_u32_e32 v14, vcc, v14, v9
	v_min_i32_e32 v18, v19, v18
	v_addc_co_u32_e32 v15, vcc, 0, v15, vcc
	v_mbcnt_lo_u32_b32 v19, -1, 0
	v_add_co_u32_e32 v16, vcc, v20, v9
	v_mbcnt_hi_u32_b32 v19, -1, v19
	v_addc_co_u32_e32 v17, vcc, 0, v21, vcc
	v_and_b32_e32 v20, 64, v19
	v_xor_b32_e32 v21, 31, v9
	v_add_u32_e32 v20, 64, v20
	v_lshrrev_b32_e64 v26, v21, -1
	v_xor_b32_e32 v21, 16, v19
	v_cmp_lt_i32_e32 vcc, v21, v20
	v_cndmask_b32_e32 v21, v19, v21, vcc
	v_lshlrev_b32_e32 v28, 2, v21
	v_xor_b32_e32 v21, 8, v19
	v_cmp_lt_i32_e32 vcc, v21, v20
	v_cndmask_b32_e32 v21, v19, v21, vcc
	v_lshlrev_b32_e32 v29, 2, v21
	;; [unrolled: 4-line block ×4, first 2 shown]
	v_xor_b32_e32 v21, 1, v19
	s_waitcnt lgkmcnt(0)
	s_add_u32 s22, s16, -4
	v_cmp_lt_i32_e32 vcc, v21, v20
	s_addc_u32 s23, s17, -1
	v_mov_b32_e32 v8, 0
	v_cndmask_b32_e32 v19, v19, v21, vcc
	s_add_u32 s24, s18, -8
	v_lshl_or_b32 v0, v9, 3, v25
	v_add_u32_e32 v27, s10, v9
	v_lshlrev_b32_e32 v32, 2, v19
	s_addc_u32 s25, s19, -1
	s_mov_b64 s[4:5], 0
	v_add_u32_e32 v33, v24, v9
	v_mov_b32_e32 v9, v8
	v_mov_b32_e32 v34, 1
	s_branch .LBB8_11
.LBB8_10:                               ;   in Loop: Header=BB8_11 Depth=1
	s_or_b64 exec, exec, s[10:11]
	ds_bpermute_b32 v18, v28, v19
	s_bcnt1_i32_b64 s0, vcc
	s_waitcnt lgkmcnt(0)
	v_min_i32_e32 v18, v18, v19
	ds_bpermute_b32 v19, v29, v18
	s_waitcnt lgkmcnt(0)
	v_min_i32_e32 v18, v19, v18
	ds_bpermute_b32 v19, v30, v18
	;; [unrolled: 3-line block ×4, first 2 shown]
	s_waitcnt lgkmcnt(0)
	v_min_i32_e32 v18, v19, v18
	v_ashrrev_i32_e32 v19, 31, v18
	v_cmp_le_i64_e32 vcc, s[2:3], v[18:19]
	s_or_b64 s[4:5], vcc, s[4:5]
	v_add_co_u32_e32 v6, vcc, s0, v6
	v_addc_co_u32_e32 v1, vcc, 0, v1, vcc
	s_andn2_b64 exec, exec, s[4:5]
	s_cbranch_execz .LBB8_33
.LBB8_11:                               ; =>This Loop Header: Depth=1
                                        ;     Child Loop BB8_14 Depth 2
                                        ;     Child Loop BB8_24 Depth 2
	v_cmp_lt_i64_e32 vcc, v[14:15], v[2:3]
	v_mov_b32_e32 v19, v7
	ds_write_b8 v33, v8
	ds_write_b64 v0, v[8:9]
	s_waitcnt lgkmcnt(0)
	s_and_saveexec_b64 s[10:11], vcc
	s_cbranch_execz .LBB8_21
; %bb.12:                               ;   in Loop: Header=BB8_11 Depth=1
	v_lshlrev_b64 v[20:21], 2, v[14:15]
	v_mov_b32_e32 v19, s15
	v_add_co_u32_e32 v20, vcc, s14, v20
	v_addc_co_u32_e32 v21, vcc, v19, v21, vcc
	v_lshlrev_b64 v[22:23], 3, v[14:15]
	v_mov_b32_e32 v19, s21
	v_add_co_u32_e32 v22, vcc, s20, v22
	v_addc_co_u32_e32 v23, vcc, v19, v23, vcc
	s_mov_b64 s[16:17], 0
	v_mov_b32_e32 v19, v7
	s_branch .LBB8_14
.LBB8_13:                               ;   in Loop: Header=BB8_14 Depth=2
	s_or_b64 exec, exec, s[0:1]
	s_and_b64 s[0:1], exec, s[18:19]
	s_or_b64 s[16:17], s[0:1], s[16:17]
	s_andn2_b64 exec, exec, s[16:17]
	s_cbranch_execz .LBB8_20
.LBB8_14:                               ;   Parent Loop BB8_11 Depth=1
                                        ; =>  This Inner Loop Header: Depth=2
	global_load_dword v35, v[20:21], off
	s_waitcnt vmcnt(0)
	v_subrev_u32_e32 v36, s8, v35
	v_sub_u32_e32 v35, v36, v18
	v_cmp_gt_u32_e32 vcc, 32, v35
	v_cmp_lt_u32_e64 s[0:1], 31, v35
	s_and_saveexec_b64 s[18:19], s[0:1]
	s_xor_b64 s[0:1], exec, s[18:19]
	s_cbranch_execnz .LBB8_17
; %bb.15:                               ;   in Loop: Header=BB8_14 Depth=2
	s_andn2_saveexec_b64 s[0:1], s[0:1]
	s_cbranch_execnz .LBB8_18
.LBB8_16:                               ;   in Loop: Header=BB8_14 Depth=2
	s_or_b64 exec, exec, s[0:1]
	s_mov_b64 s[18:19], -1
	s_and_saveexec_b64 s[0:1], vcc
	s_cbranch_execz .LBB8_13
	s_branch .LBB8_19
.LBB8_17:                               ;   in Loop: Header=BB8_14 Depth=2
	v_min_i32_e32 v19, v36, v19
                                        ; implicit-def: $vgpr35
	s_andn2_saveexec_b64 s[0:1], s[0:1]
	s_cbranch_execz .LBB8_16
.LBB8_18:                               ;   in Loop: Header=BB8_14 Depth=2
	global_load_dwordx2 v[36:37], v[22:23], off
	v_add_u32_e32 v38, v24, v35
	v_lshl_add_u32 v35, v35, 3, v25
	ds_write_b8 v38, v34
	s_waitcnt vmcnt(0)
	v_mul_f64 v[36:37], v[10:11], v[36:37]
	ds_write_b64 v35, v[36:37]
	s_or_b64 exec, exec, s[0:1]
	s_mov_b64 s[18:19], -1
	s_and_saveexec_b64 s[0:1], vcc
	s_cbranch_execz .LBB8_13
.LBB8_19:                               ;   in Loop: Header=BB8_14 Depth=2
	v_add_co_u32_e32 v14, vcc, 32, v14
	v_addc_co_u32_e32 v15, vcc, 0, v15, vcc
	v_add_co_u32_e32 v20, vcc, 0x80, v20
	v_addc_co_u32_e32 v21, vcc, 0, v21, vcc
	;; [unrolled: 2-line block ×3, first 2 shown]
	v_cmp_ge_i64_e32 vcc, v[14:15], v[2:3]
	s_orn2_b64 s[18:19], vcc, exec
	s_branch .LBB8_13
.LBB8_20:                               ;   in Loop: Header=BB8_11 Depth=1
	s_or_b64 exec, exec, s[16:17]
.LBB8_21:                               ;   in Loop: Header=BB8_11 Depth=1
	s_or_b64 exec, exec, s[10:11]
	v_cmp_lt_i64_e32 vcc, v[16:17], v[4:5]
	s_waitcnt lgkmcnt(0)
	s_and_saveexec_b64 s[10:11], vcc
	s_cbranch_execz .LBB8_31
; %bb.22:                               ;   in Loop: Header=BB8_11 Depth=1
	v_lshlrev_b64 v[20:21], 2, v[16:17]
	v_mov_b32_e32 v22, s7
	v_add_co_u32_e32 v20, vcc, s6, v20
	v_addc_co_u32_e32 v21, vcc, v22, v21, vcc
	v_lshlrev_b64 v[22:23], 3, v[16:17]
	v_mov_b32_e32 v35, s13
	v_add_co_u32_e32 v22, vcc, s12, v22
	v_addc_co_u32_e32 v23, vcc, v35, v23, vcc
	s_mov_b64 s[16:17], 0
	s_branch .LBB8_24
.LBB8_23:                               ;   in Loop: Header=BB8_24 Depth=2
	s_or_b64 exec, exec, s[0:1]
	s_and_b64 s[0:1], exec, s[18:19]
	s_or_b64 s[16:17], s[0:1], s[16:17]
	s_andn2_b64 exec, exec, s[16:17]
	s_cbranch_execz .LBB8_30
.LBB8_24:                               ;   Parent Loop BB8_11 Depth=1
                                        ; =>  This Inner Loop Header: Depth=2
	global_load_dword v35, v[20:21], off
	s_waitcnt vmcnt(0)
	v_subrev_u32_e32 v36, s9, v35
	v_sub_u32_e32 v35, v36, v18
	v_cmp_gt_u32_e32 vcc, 32, v35
	v_cmp_lt_u32_e64 s[0:1], 31, v35
	s_and_saveexec_b64 s[18:19], s[0:1]
	s_xor_b64 s[0:1], exec, s[18:19]
	s_cbranch_execnz .LBB8_27
; %bb.25:                               ;   in Loop: Header=BB8_24 Depth=2
	s_andn2_saveexec_b64 s[0:1], s[0:1]
	s_cbranch_execnz .LBB8_28
.LBB8_26:                               ;   in Loop: Header=BB8_24 Depth=2
	s_or_b64 exec, exec, s[0:1]
	s_mov_b64 s[18:19], -1
	s_and_saveexec_b64 s[0:1], vcc
	s_cbranch_execz .LBB8_23
	s_branch .LBB8_29
.LBB8_27:                               ;   in Loop: Header=BB8_24 Depth=2
	v_min_i32_e32 v19, v36, v19
                                        ; implicit-def: $vgpr35
	s_andn2_saveexec_b64 s[0:1], s[0:1]
	s_cbranch_execz .LBB8_26
.LBB8_28:                               ;   in Loop: Header=BB8_24 Depth=2
	global_load_dwordx2 v[36:37], v[22:23], off
	v_lshl_add_u32 v40, v35, 3, v25
	ds_read_b64 v[38:39], v40
	v_add_u32_e32 v35, v24, v35
	ds_write_b8 v35, v34
	s_waitcnt vmcnt(0) lgkmcnt(1)
	v_fmac_f64_e32 v[38:39], v[12:13], v[36:37]
	ds_write_b64 v40, v[38:39]
	s_or_b64 exec, exec, s[0:1]
	s_mov_b64 s[18:19], -1
	s_and_saveexec_b64 s[0:1], vcc
	s_cbranch_execz .LBB8_23
.LBB8_29:                               ;   in Loop: Header=BB8_24 Depth=2
	v_add_co_u32_e32 v16, vcc, 32, v16
	v_addc_co_u32_e32 v17, vcc, 0, v17, vcc
	v_add_co_u32_e32 v20, vcc, 0x80, v20
	v_addc_co_u32_e32 v21, vcc, 0, v21, vcc
	;; [unrolled: 2-line block ×3, first 2 shown]
	v_cmp_ge_i64_e32 vcc, v[16:17], v[4:5]
	s_orn2_b64 s[18:19], vcc, exec
	s_branch .LBB8_23
.LBB8_30:                               ;   in Loop: Header=BB8_11 Depth=1
	s_or_b64 exec, exec, s[16:17]
.LBB8_31:                               ;   in Loop: Header=BB8_11 Depth=1
	s_or_b64 exec, exec, s[10:11]
	s_waitcnt lgkmcnt(0)
	ds_read_u8 v20, v33
	s_waitcnt lgkmcnt(0)
	v_and_b32_e32 v21, 1, v20
	v_cmp_eq_u32_e64 s[0:1], 1, v21
	v_cmp_ne_u16_e32 vcc, 0, v20
	s_and_saveexec_b64 s[10:11], s[0:1]
	s_cbranch_execz .LBB8_10
; %bb.32:                               ;   in Loop: Header=BB8_11 Depth=1
	v_and_b32_e32 v20, vcc_lo, v26
	v_bcnt_u32_b32 v20, v20, 0
	v_add_co_u32_e64 v20, s[0:1], v6, v20
	v_addc_co_u32_e64 v21, s[0:1], 0, v1, s[0:1]
	v_lshlrev_b64 v[22:23], 2, v[20:21]
	v_mov_b32_e32 v35, s23
	v_add_co_u32_e64 v22, s[0:1], s22, v22
	v_add_u32_e32 v18, v27, v18
	v_addc_co_u32_e64 v23, s[0:1], v35, v23, s[0:1]
	global_store_dword v[22:23], v18, off
	ds_read_b64 v[22:23], v0
	v_lshlrev_b64 v[20:21], 3, v[20:21]
	v_mov_b32_e32 v18, s25
	v_add_co_u32_e64 v20, s[0:1], s24, v20
	v_addc_co_u32_e64 v21, s[0:1], v18, v21, s[0:1]
	s_waitcnt lgkmcnt(0)
	global_store_dwordx2 v[20:21], v[22:23], off
	s_branch .LBB8_10
.LBB8_33:
	s_endpgm
	.section	.rodata,"a",@progbits
	.p2align	6, 0x0
	.amdhsa_kernel _ZN9rocsparseL29csrgeam_fill_multipass_kernelILj256ELj32ElidEEvllNS_24const_host_device_scalarIT3_EEPKT1_PKT2_PKS2_S3_S6_S9_SB_S6_PS7_PS2_21rocsparse_index_base_SE_SE_bbb
		.amdhsa_group_segment_fixed_size 2304
		.amdhsa_private_segment_fixed_size 0
		.amdhsa_kernarg_size 120
		.amdhsa_user_sgpr_count 6
		.amdhsa_user_sgpr_private_segment_buffer 1
		.amdhsa_user_sgpr_dispatch_ptr 0
		.amdhsa_user_sgpr_queue_ptr 0
		.amdhsa_user_sgpr_kernarg_segment_ptr 1
		.amdhsa_user_sgpr_dispatch_id 0
		.amdhsa_user_sgpr_flat_scratch_init 0
		.amdhsa_user_sgpr_kernarg_preload_length 0
		.amdhsa_user_sgpr_kernarg_preload_offset 0
		.amdhsa_user_sgpr_private_segment_size 0
		.amdhsa_uses_dynamic_stack 0
		.amdhsa_system_sgpr_private_segment_wavefront_offset 0
		.amdhsa_system_sgpr_workgroup_id_x 1
		.amdhsa_system_sgpr_workgroup_id_y 0
		.amdhsa_system_sgpr_workgroup_id_z 0
		.amdhsa_system_sgpr_workgroup_info 0
		.amdhsa_system_vgpr_workitem_id 0
		.amdhsa_next_free_vgpr 41
		.amdhsa_next_free_sgpr 26
		.amdhsa_accum_offset 44
		.amdhsa_reserve_vcc 1
		.amdhsa_reserve_flat_scratch 0
		.amdhsa_float_round_mode_32 0
		.amdhsa_float_round_mode_16_64 0
		.amdhsa_float_denorm_mode_32 3
		.amdhsa_float_denorm_mode_16_64 3
		.amdhsa_dx10_clamp 1
		.amdhsa_ieee_mode 1
		.amdhsa_fp16_overflow 0
		.amdhsa_tg_split 0
		.amdhsa_exception_fp_ieee_invalid_op 0
		.amdhsa_exception_fp_denorm_src 0
		.amdhsa_exception_fp_ieee_div_zero 0
		.amdhsa_exception_fp_ieee_overflow 0
		.amdhsa_exception_fp_ieee_underflow 0
		.amdhsa_exception_fp_ieee_inexact 0
		.amdhsa_exception_int_div_zero 0
	.end_amdhsa_kernel
	.section	.text._ZN9rocsparseL29csrgeam_fill_multipass_kernelILj256ELj32ElidEEvllNS_24const_host_device_scalarIT3_EEPKT1_PKT2_PKS2_S3_S6_S9_SB_S6_PS7_PS2_21rocsparse_index_base_SE_SE_bbb,"axG",@progbits,_ZN9rocsparseL29csrgeam_fill_multipass_kernelILj256ELj32ElidEEvllNS_24const_host_device_scalarIT3_EEPKT1_PKT2_PKS2_S3_S6_S9_SB_S6_PS7_PS2_21rocsparse_index_base_SE_SE_bbb,comdat
.Lfunc_end8:
	.size	_ZN9rocsparseL29csrgeam_fill_multipass_kernelILj256ELj32ElidEEvllNS_24const_host_device_scalarIT3_EEPKT1_PKT2_PKS2_S3_S6_S9_SB_S6_PS7_PS2_21rocsparse_index_base_SE_SE_bbb, .Lfunc_end8-_ZN9rocsparseL29csrgeam_fill_multipass_kernelILj256ELj32ElidEEvllNS_24const_host_device_scalarIT3_EEPKT1_PKT2_PKS2_S3_S6_S9_SB_S6_PS7_PS2_21rocsparse_index_base_SE_SE_bbb
                                        ; -- End function
	.section	.AMDGPU.csdata,"",@progbits
; Kernel info:
; codeLenInByte = 1608
; NumSgprs: 30
; NumVgprs: 41
; NumAgprs: 0
; TotalNumVgprs: 41
; ScratchSize: 0
; MemoryBound: 0
; FloatMode: 240
; IeeeMode: 1
; LDSByteSize: 2304 bytes/workgroup (compile time only)
; SGPRBlocks: 3
; VGPRBlocks: 5
; NumSGPRsForWavesPerEU: 30
; NumVGPRsForWavesPerEU: 41
; AccumOffset: 44
; Occupancy: 8
; WaveLimiterHint : 1
; COMPUTE_PGM_RSRC2:SCRATCH_EN: 0
; COMPUTE_PGM_RSRC2:USER_SGPR: 6
; COMPUTE_PGM_RSRC2:TRAP_HANDLER: 0
; COMPUTE_PGM_RSRC2:TGID_X_EN: 1
; COMPUTE_PGM_RSRC2:TGID_Y_EN: 0
; COMPUTE_PGM_RSRC2:TGID_Z_EN: 0
; COMPUTE_PGM_RSRC2:TIDIG_COMP_CNT: 0
; COMPUTE_PGM_RSRC3_GFX90A:ACCUM_OFFSET: 10
; COMPUTE_PGM_RSRC3_GFX90A:TG_SPLIT: 0
	.section	.text._ZN9rocsparseL29csrgeam_fill_multipass_kernelILj256ELj64ElidEEvllNS_24const_host_device_scalarIT3_EEPKT1_PKT2_PKS2_S3_S6_S9_SB_S6_PS7_PS2_21rocsparse_index_base_SE_SE_bbb,"axG",@progbits,_ZN9rocsparseL29csrgeam_fill_multipass_kernelILj256ELj64ElidEEvllNS_24const_host_device_scalarIT3_EEPKT1_PKT2_PKS2_S3_S6_S9_SB_S6_PS7_PS2_21rocsparse_index_base_SE_SE_bbb,comdat
	.globl	_ZN9rocsparseL29csrgeam_fill_multipass_kernelILj256ELj64ElidEEvllNS_24const_host_device_scalarIT3_EEPKT1_PKT2_PKS2_S3_S6_S9_SB_S6_PS7_PS2_21rocsparse_index_base_SE_SE_bbb ; -- Begin function _ZN9rocsparseL29csrgeam_fill_multipass_kernelILj256ELj64ElidEEvllNS_24const_host_device_scalarIT3_EEPKT1_PKT2_PKS2_S3_S6_S9_SB_S6_PS7_PS2_21rocsparse_index_base_SE_SE_bbb
	.p2align	8
	.type	_ZN9rocsparseL29csrgeam_fill_multipass_kernelILj256ELj64ElidEEvllNS_24const_host_device_scalarIT3_EEPKT1_PKT2_PKS2_S3_S6_S9_SB_S6_PS7_PS2_21rocsparse_index_base_SE_SE_bbb,@function
_ZN9rocsparseL29csrgeam_fill_multipass_kernelILj256ELj64ElidEEvllNS_24const_host_device_scalarIT3_EEPKT1_PKT2_PKS2_S3_S6_S9_SB_S6_PS7_PS2_21rocsparse_index_base_SE_SE_bbb: ; @_ZN9rocsparseL29csrgeam_fill_multipass_kernelILj256ELj64ElidEEvllNS_24const_host_device_scalarIT3_EEPKT1_PKT2_PKS2_S3_S6_S9_SB_S6_PS7_PS2_21rocsparse_index_base_SE_SE_bbb
; %bb.0:
	s_load_dwordx4 s[8:11], s[4:5], 0x68
	s_load_dword s7, s[4:5], 0x74
	s_load_dwordx2 s[12:13], s[4:5], 0x30
	s_load_dwordx4 s[0:3], s[4:5], 0x0
	s_load_dwordx2 s[16:17], s[4:5], 0x10
	s_waitcnt lgkmcnt(0)
	s_and_b32 s11, 1, s11
	s_bitcmp1_b32 s7, 16
	s_cselect_b64 s[14:15], -1, 0
	s_cmp_eq_u32 s11, 1
	s_cselect_b64 s[18:19], -1, 0
	s_and_b64 s[20:21], s[18:19], exec
	s_cselect_b32 s21, s17, 0
	s_cselect_b32 s20, s16, 0
	s_xor_b64 s[18:19], s[18:19], -1
	s_or_b64 s[18:19], s[18:19], s[14:15]
	s_and_b64 vcc, exec, s[18:19]
	v_pk_mov_b32 v[10:11], s[20:21], s[20:21] op_sel:[0,1]
	s_cbranch_vccnz .LBB9_2
; %bb.1:
	v_pk_mov_b32 v[2:3], s[16:17], s[16:17] op_sel:[0,1]
	flat_load_dwordx2 v[10:11], v[2:3]
.LBB9_2:
	s_bitcmp1_b32 s7, 8
	s_cselect_b64 s[16:17], -1, 0
	s_and_b64 s[18:19], s[16:17], exec
	s_cselect_b32 s19, s13, 0
	s_cselect_b32 s18, s12, 0
	s_xor_b64 s[16:17], s[16:17], -1
	s_or_b64 s[14:15], s[16:17], s[14:15]
	s_and_b64 vcc, exec, s[14:15]
	v_pk_mov_b32 v[12:13], s[18:19], s[18:19] op_sel:[0,1]
	s_cbranch_vccnz .LBB9_4
; %bb.3:
	v_pk_mov_b32 v[2:3], s[12:13], s[12:13] op_sel:[0,1]
	flat_load_dwordx2 v[12:13], v[2:3]
.LBB9_4:
	s_lshl_b32 s6, s6, 2
	v_lshrrev_b32_e32 v1, 6, v0
	s_and_b32 s6, s6, 0x3fffffc
	v_or_b32_e32 v2, s6, v1
	v_mov_b32_e32 v3, 0
	v_cmp_gt_i64_e32 vcc, s[0:1], v[2:3]
	s_and_saveexec_b64 s[0:1], vcc
	s_cbranch_execz .LBB9_33
; %bb.5:
	s_load_dwordx4 s[12:15], s[4:5], 0x18
	s_load_dwordx2 s[0:1], s[4:5], 0x50
	s_load_dwordx2 s[6:7], s[4:5], 0x38
	v_lshlrev_b32_e32 v1, 3, v2
	s_mov_b32 s22, 0
	s_mov_b32 s11, s8
	s_waitcnt lgkmcnt(0)
	global_load_dwordx4 v[2:5], v1, s[12:13]
	global_load_dwordx4 v[6:9], v1, s[6:7]
	global_load_dwordx2 v[16:17], v1, s[0:1]
	s_waitcnt vmcnt(0)
	v_subrev_co_u32_e32 v14, vcc, s8, v2
	v_subbrev_co_u32_e32 v15, vcc, 0, v3, vcc
	v_cmp_ge_i64_e32 vcc, v[2:3], v[4:5]
	s_and_saveexec_b64 s[0:1], vcc
	s_xor_b64 s[0:1], exec, s[0:1]
	s_or_saveexec_b64 s[0:1], s[0:1]
	v_mov_b32_e32 v20, s2
	s_xor_b64 exec, exec, s[0:1]
	s_cbranch_execz .LBB9_7
; %bb.6:
	v_lshlrev_b64 v[2:3], 2, v[14:15]
	v_mov_b32_e32 v1, s15
	v_add_co_u32_e32 v2, vcc, s14, v2
	v_addc_co_u32_e32 v3, vcc, v1, v3, vcc
	global_load_dword v1, v[2:3], off
	s_waitcnt vmcnt(0)
	v_subrev_u32_e32 v20, s8, v1
.LBB9_7:
	s_or_b64 exec, exec, s[0:1]
	s_load_dwordx4 s[16:19], s[4:5], 0x58
	s_load_dwordx2 s[6:7], s[4:5], 0x40
	v_subrev_co_u32_e32 v18, vcc, s9, v6
	v_subbrev_co_u32_e32 v19, vcc, 0, v7, vcc
	s_mov_b32 s23, 0
	s_mov_b32 s24, s9
	v_cmp_ge_i64_e32 vcc, v[6:7], v[8:9]
	s_and_saveexec_b64 s[0:1], vcc
	s_xor_b64 s[0:1], exec, s[0:1]
	s_or_saveexec_b64 s[0:1], s[0:1]
	s_load_dwordx2 s[12:13], s[4:5], 0x48
	s_load_dwordx2 s[20:21], s[4:5], 0x28
	v_mov_b32_e32 v7, s2
	v_mov_b32_e32 v21, s2
	s_xor_b64 exec, exec, s[0:1]
	s_cbranch_execz .LBB9_9
; %bb.8:
	v_lshlrev_b64 v[2:3], 2, v[18:19]
	s_waitcnt lgkmcnt(0)
	v_mov_b32_e32 v1, s7
	v_add_co_u32_e32 v2, vcc, s6, v2
	v_addc_co_u32_e32 v3, vcc, v1, v3, vcc
	global_load_dword v1, v[2:3], off
	v_mov_b32_e32 v7, s2
	s_waitcnt vmcnt(0)
	v_subrev_u32_e32 v21, s9, v1
.LBB9_9:
	s_or_b64 exec, exec, s[0:1]
	v_and_b32_e32 v1, 0xc0, v0
	v_or_b32_e32 v26, 0x800, v1
	v_lshlrev_b32_e32 v27, 3, v1
	v_mov_b32_e32 v1, s22
	v_subrev_co_u32_e32 v2, vcc, s11, v4
	v_subb_co_u32_e32 v3, vcc, v5, v1, vcc
	v_mov_b32_e32 v1, s23
	v_subrev_co_u32_e32 v4, vcc, s24, v8
	v_subb_co_u32_e32 v5, vcc, v9, v1, vcc
	v_subrev_co_u32_e32 v6, vcc, s10, v16
	v_subbrev_co_u32_e32 v1, vcc, 0, v17, vcc
	v_and_b32_e32 v9, 63, v0
	v_add_co_u32_e32 v14, vcc, v14, v9
	v_addc_co_u32_e32 v15, vcc, 0, v15, vcc
	v_add_co_u32_e32 v16, vcc, v18, v9
	v_mbcnt_lo_u32_b32 v18, -1, 0
	v_min_i32_e32 v20, v21, v20
	v_mbcnt_hi_u32_b32 v21, -1, v18
	v_and_b32_e32 v18, 64, v21
	v_addc_co_u32_e32 v17, vcc, 0, v19, vcc
	v_add_u32_e32 v22, 64, v18
	v_xor_b32_e32 v23, 32, v21
	v_cmp_lt_i32_e32 vcc, v23, v22
	v_cndmask_b32_e32 v23, v21, v23, vcc
	v_lshlrev_b32_e32 v29, 2, v23
	v_xor_b32_e32 v23, 16, v21
	v_cmp_lt_i32_e32 vcc, v23, v22
	v_cndmask_b32_e32 v23, v21, v23, vcc
	v_lshlrev_b32_e32 v30, 2, v23
	;; [unrolled: 4-line block ×5, first 2 shown]
	v_xor_b32_e32 v23, 1, v21
	s_waitcnt lgkmcnt(0)
	s_add_u32 s22, s16, -4
	v_cmp_lt_i32_e32 vcc, v23, v22
	s_addc_u32 s23, s17, -1
	v_mov_b32_e32 v8, 0
	v_xor_b32_e32 v18, 63, v9
	v_cndmask_b32_e32 v21, v21, v23, vcc
	s_add_u32 s24, s18, -8
	v_lshl_or_b32 v0, v9, 3, v27
	v_lshrrev_b64 v[18:19], v18, -1
	v_add_u32_e32 v28, s10, v9
	v_lshlrev_b32_e32 v34, 2, v21
	s_addc_u32 s25, s19, -1
	s_mov_b64 s[4:5], 0
	v_add_u32_e32 v35, v26, v9
	v_mov_b32_e32 v9, v8
	v_mov_b32_e32 v36, 1
	s_branch .LBB9_11
.LBB9_10:                               ;   in Loop: Header=BB9_11 Depth=1
	s_or_b64 exec, exec, s[10:11]
	ds_bpermute_b32 v20, v29, v21
	s_bcnt1_i32_b64 s0, vcc
	s_waitcnt lgkmcnt(0)
	v_min_i32_e32 v20, v20, v21
	ds_bpermute_b32 v21, v30, v20
	s_waitcnt lgkmcnt(0)
	v_min_i32_e32 v20, v21, v20
	ds_bpermute_b32 v21, v31, v20
	;; [unrolled: 3-line block ×5, first 2 shown]
	s_waitcnt lgkmcnt(0)
	v_min_i32_e32 v20, v21, v20
	v_ashrrev_i32_e32 v21, 31, v20
	v_cmp_le_i64_e32 vcc, s[2:3], v[20:21]
	s_or_b64 s[4:5], vcc, s[4:5]
	v_add_co_u32_e32 v6, vcc, s0, v6
	v_addc_co_u32_e32 v1, vcc, 0, v1, vcc
	s_andn2_b64 exec, exec, s[4:5]
	s_cbranch_execz .LBB9_33
.LBB9_11:                               ; =>This Loop Header: Depth=1
                                        ;     Child Loop BB9_14 Depth 2
                                        ;     Child Loop BB9_24 Depth 2
	v_cmp_lt_i64_e32 vcc, v[14:15], v[2:3]
	v_mov_b32_e32 v21, v7
	ds_write_b8 v35, v8
	ds_write_b64 v0, v[8:9]
	s_waitcnt lgkmcnt(0)
	s_and_saveexec_b64 s[10:11], vcc
	s_cbranch_execz .LBB9_21
; %bb.12:                               ;   in Loop: Header=BB9_11 Depth=1
	v_lshlrev_b64 v[22:23], 2, v[14:15]
	v_mov_b32_e32 v21, s15
	v_add_co_u32_e32 v22, vcc, s14, v22
	v_addc_co_u32_e32 v23, vcc, v21, v23, vcc
	v_lshlrev_b64 v[24:25], 3, v[14:15]
	v_mov_b32_e32 v21, s21
	v_add_co_u32_e32 v24, vcc, s20, v24
	v_addc_co_u32_e32 v25, vcc, v21, v25, vcc
	s_mov_b64 s[16:17], 0
	v_mov_b32_e32 v21, v7
	s_branch .LBB9_14
.LBB9_13:                               ;   in Loop: Header=BB9_14 Depth=2
	s_or_b64 exec, exec, s[0:1]
	s_and_b64 s[0:1], exec, s[18:19]
	s_or_b64 s[16:17], s[0:1], s[16:17]
	s_andn2_b64 exec, exec, s[16:17]
	s_cbranch_execz .LBB9_20
.LBB9_14:                               ;   Parent Loop BB9_11 Depth=1
                                        ; =>  This Inner Loop Header: Depth=2
	global_load_dword v37, v[22:23], off
	s_waitcnt vmcnt(0)
	v_subrev_u32_e32 v38, s8, v37
	v_sub_u32_e32 v37, v38, v20
	v_cmp_gt_u32_e32 vcc, 64, v37
	v_cmp_lt_u32_e64 s[0:1], 63, v37
	s_and_saveexec_b64 s[18:19], s[0:1]
	s_xor_b64 s[0:1], exec, s[18:19]
	s_cbranch_execnz .LBB9_17
; %bb.15:                               ;   in Loop: Header=BB9_14 Depth=2
	s_andn2_saveexec_b64 s[0:1], s[0:1]
	s_cbranch_execnz .LBB9_18
.LBB9_16:                               ;   in Loop: Header=BB9_14 Depth=2
	s_or_b64 exec, exec, s[0:1]
	s_mov_b64 s[18:19], -1
	s_and_saveexec_b64 s[0:1], vcc
	s_cbranch_execz .LBB9_13
	s_branch .LBB9_19
.LBB9_17:                               ;   in Loop: Header=BB9_14 Depth=2
	v_min_i32_e32 v21, v38, v21
                                        ; implicit-def: $vgpr37
	s_andn2_saveexec_b64 s[0:1], s[0:1]
	s_cbranch_execz .LBB9_16
.LBB9_18:                               ;   in Loop: Header=BB9_14 Depth=2
	global_load_dwordx2 v[38:39], v[24:25], off
	v_add_u32_e32 v40, v26, v37
	v_lshl_add_u32 v37, v37, 3, v27
	ds_write_b8 v40, v36
	s_waitcnt vmcnt(0)
	v_mul_f64 v[38:39], v[10:11], v[38:39]
	ds_write_b64 v37, v[38:39]
	s_or_b64 exec, exec, s[0:1]
	s_mov_b64 s[18:19], -1
	s_and_saveexec_b64 s[0:1], vcc
	s_cbranch_execz .LBB9_13
.LBB9_19:                               ;   in Loop: Header=BB9_14 Depth=2
	v_add_co_u32_e32 v14, vcc, 64, v14
	v_addc_co_u32_e32 v15, vcc, 0, v15, vcc
	v_add_co_u32_e32 v22, vcc, 0x100, v22
	v_addc_co_u32_e32 v23, vcc, 0, v23, vcc
	v_add_co_u32_e32 v24, vcc, 0x200, v24
	v_addc_co_u32_e32 v25, vcc, 0, v25, vcc
	v_cmp_ge_i64_e32 vcc, v[14:15], v[2:3]
	s_orn2_b64 s[18:19], vcc, exec
	s_branch .LBB9_13
.LBB9_20:                               ;   in Loop: Header=BB9_11 Depth=1
	s_or_b64 exec, exec, s[16:17]
.LBB9_21:                               ;   in Loop: Header=BB9_11 Depth=1
	s_or_b64 exec, exec, s[10:11]
	v_cmp_lt_i64_e32 vcc, v[16:17], v[4:5]
	s_waitcnt lgkmcnt(0)
	s_and_saveexec_b64 s[10:11], vcc
	s_cbranch_execz .LBB9_31
; %bb.22:                               ;   in Loop: Header=BB9_11 Depth=1
	v_lshlrev_b64 v[22:23], 2, v[16:17]
	v_mov_b32_e32 v24, s7
	v_add_co_u32_e32 v22, vcc, s6, v22
	v_addc_co_u32_e32 v23, vcc, v24, v23, vcc
	v_lshlrev_b64 v[24:25], 3, v[16:17]
	v_mov_b32_e32 v37, s13
	v_add_co_u32_e32 v24, vcc, s12, v24
	v_addc_co_u32_e32 v25, vcc, v37, v25, vcc
	s_mov_b64 s[16:17], 0
	s_branch .LBB9_24
.LBB9_23:                               ;   in Loop: Header=BB9_24 Depth=2
	s_or_b64 exec, exec, s[0:1]
	s_and_b64 s[0:1], exec, s[18:19]
	s_or_b64 s[16:17], s[0:1], s[16:17]
	s_andn2_b64 exec, exec, s[16:17]
	s_cbranch_execz .LBB9_30
.LBB9_24:                               ;   Parent Loop BB9_11 Depth=1
                                        ; =>  This Inner Loop Header: Depth=2
	global_load_dword v37, v[22:23], off
	s_waitcnt vmcnt(0)
	v_subrev_u32_e32 v38, s9, v37
	v_sub_u32_e32 v37, v38, v20
	v_cmp_gt_u32_e32 vcc, 64, v37
	v_cmp_lt_u32_e64 s[0:1], 63, v37
	s_and_saveexec_b64 s[18:19], s[0:1]
	s_xor_b64 s[0:1], exec, s[18:19]
	s_cbranch_execnz .LBB9_27
; %bb.25:                               ;   in Loop: Header=BB9_24 Depth=2
	s_andn2_saveexec_b64 s[0:1], s[0:1]
	s_cbranch_execnz .LBB9_28
.LBB9_26:                               ;   in Loop: Header=BB9_24 Depth=2
	s_or_b64 exec, exec, s[0:1]
	s_mov_b64 s[18:19], -1
	s_and_saveexec_b64 s[0:1], vcc
	s_cbranch_execz .LBB9_23
	s_branch .LBB9_29
.LBB9_27:                               ;   in Loop: Header=BB9_24 Depth=2
	v_min_i32_e32 v21, v38, v21
                                        ; implicit-def: $vgpr37
	s_andn2_saveexec_b64 s[0:1], s[0:1]
	s_cbranch_execz .LBB9_26
.LBB9_28:                               ;   in Loop: Header=BB9_24 Depth=2
	global_load_dwordx2 v[38:39], v[24:25], off
	v_lshl_add_u32 v42, v37, 3, v27
	ds_read_b64 v[40:41], v42
	v_add_u32_e32 v37, v26, v37
	ds_write_b8 v37, v36
	s_waitcnt vmcnt(0) lgkmcnt(1)
	v_fmac_f64_e32 v[40:41], v[12:13], v[38:39]
	ds_write_b64 v42, v[40:41]
	s_or_b64 exec, exec, s[0:1]
	s_mov_b64 s[18:19], -1
	s_and_saveexec_b64 s[0:1], vcc
	s_cbranch_execz .LBB9_23
.LBB9_29:                               ;   in Loop: Header=BB9_24 Depth=2
	v_add_co_u32_e32 v16, vcc, 64, v16
	v_addc_co_u32_e32 v17, vcc, 0, v17, vcc
	v_add_co_u32_e32 v22, vcc, 0x100, v22
	v_addc_co_u32_e32 v23, vcc, 0, v23, vcc
	;; [unrolled: 2-line block ×3, first 2 shown]
	v_cmp_ge_i64_e32 vcc, v[16:17], v[4:5]
	s_orn2_b64 s[18:19], vcc, exec
	s_branch .LBB9_23
.LBB9_30:                               ;   in Loop: Header=BB9_11 Depth=1
	s_or_b64 exec, exec, s[16:17]
.LBB9_31:                               ;   in Loop: Header=BB9_11 Depth=1
	s_or_b64 exec, exec, s[10:11]
	s_waitcnt lgkmcnt(0)
	ds_read_u8 v22, v35
	s_waitcnt lgkmcnt(0)
	v_and_b32_e32 v23, 1, v22
	v_cmp_eq_u32_e64 s[0:1], 1, v23
	v_cmp_ne_u16_e32 vcc, 0, v22
	s_and_saveexec_b64 s[10:11], s[0:1]
	s_cbranch_execz .LBB9_10
; %bb.32:                               ;   in Loop: Header=BB9_11 Depth=1
	v_and_b32_e32 v23, vcc_lo, v18
	v_and_b32_e32 v22, vcc_hi, v19
	v_bcnt_u32_b32 v23, v23, 0
	v_bcnt_u32_b32 v22, v22, v23
	v_add_co_u32_e64 v22, s[0:1], v6, v22
	v_addc_co_u32_e64 v23, s[0:1], 0, v1, s[0:1]
	v_lshlrev_b64 v[24:25], 2, v[22:23]
	v_mov_b32_e32 v37, s23
	v_add_co_u32_e64 v24, s[0:1], s22, v24
	v_add_u32_e32 v20, v28, v20
	v_addc_co_u32_e64 v25, s[0:1], v37, v25, s[0:1]
	global_store_dword v[24:25], v20, off
	ds_read_b64 v[24:25], v0
	v_lshlrev_b64 v[22:23], 3, v[22:23]
	v_mov_b32_e32 v20, s25
	v_add_co_u32_e64 v22, s[0:1], s24, v22
	v_addc_co_u32_e64 v23, s[0:1], v20, v23, s[0:1]
	s_waitcnt lgkmcnt(0)
	global_store_dwordx2 v[22:23], v[24:25], off
	s_branch .LBB9_10
.LBB9_33:
	s_endpgm
	.section	.rodata,"a",@progbits
	.p2align	6, 0x0
	.amdhsa_kernel _ZN9rocsparseL29csrgeam_fill_multipass_kernelILj256ELj64ElidEEvllNS_24const_host_device_scalarIT3_EEPKT1_PKT2_PKS2_S3_S6_S9_SB_S6_PS7_PS2_21rocsparse_index_base_SE_SE_bbb
		.amdhsa_group_segment_fixed_size 2304
		.amdhsa_private_segment_fixed_size 0
		.amdhsa_kernarg_size 120
		.amdhsa_user_sgpr_count 6
		.amdhsa_user_sgpr_private_segment_buffer 1
		.amdhsa_user_sgpr_dispatch_ptr 0
		.amdhsa_user_sgpr_queue_ptr 0
		.amdhsa_user_sgpr_kernarg_segment_ptr 1
		.amdhsa_user_sgpr_dispatch_id 0
		.amdhsa_user_sgpr_flat_scratch_init 0
		.amdhsa_user_sgpr_kernarg_preload_length 0
		.amdhsa_user_sgpr_kernarg_preload_offset 0
		.amdhsa_user_sgpr_private_segment_size 0
		.amdhsa_uses_dynamic_stack 0
		.amdhsa_system_sgpr_private_segment_wavefront_offset 0
		.amdhsa_system_sgpr_workgroup_id_x 1
		.amdhsa_system_sgpr_workgroup_id_y 0
		.amdhsa_system_sgpr_workgroup_id_z 0
		.amdhsa_system_sgpr_workgroup_info 0
		.amdhsa_system_vgpr_workitem_id 0
		.amdhsa_next_free_vgpr 43
		.amdhsa_next_free_sgpr 26
		.amdhsa_accum_offset 44
		.amdhsa_reserve_vcc 1
		.amdhsa_reserve_flat_scratch 0
		.amdhsa_float_round_mode_32 0
		.amdhsa_float_round_mode_16_64 0
		.amdhsa_float_denorm_mode_32 3
		.amdhsa_float_denorm_mode_16_64 3
		.amdhsa_dx10_clamp 1
		.amdhsa_ieee_mode 1
		.amdhsa_fp16_overflow 0
		.amdhsa_tg_split 0
		.amdhsa_exception_fp_ieee_invalid_op 0
		.amdhsa_exception_fp_denorm_src 0
		.amdhsa_exception_fp_ieee_div_zero 0
		.amdhsa_exception_fp_ieee_overflow 0
		.amdhsa_exception_fp_ieee_underflow 0
		.amdhsa_exception_fp_ieee_inexact 0
		.amdhsa_exception_int_div_zero 0
	.end_amdhsa_kernel
	.section	.text._ZN9rocsparseL29csrgeam_fill_multipass_kernelILj256ELj64ElidEEvllNS_24const_host_device_scalarIT3_EEPKT1_PKT2_PKS2_S3_S6_S9_SB_S6_PS7_PS2_21rocsparse_index_base_SE_SE_bbb,"axG",@progbits,_ZN9rocsparseL29csrgeam_fill_multipass_kernelILj256ELj64ElidEEvllNS_24const_host_device_scalarIT3_EEPKT1_PKT2_PKS2_S3_S6_S9_SB_S6_PS7_PS2_21rocsparse_index_base_SE_SE_bbb,comdat
.Lfunc_end9:
	.size	_ZN9rocsparseL29csrgeam_fill_multipass_kernelILj256ELj64ElidEEvllNS_24const_host_device_scalarIT3_EEPKT1_PKT2_PKS2_S3_S6_S9_SB_S6_PS7_PS2_21rocsparse_index_base_SE_SE_bbb, .Lfunc_end9-_ZN9rocsparseL29csrgeam_fill_multipass_kernelILj256ELj64ElidEEvllNS_24const_host_device_scalarIT3_EEPKT1_PKT2_PKS2_S3_S6_S9_SB_S6_PS7_PS2_21rocsparse_index_base_SE_SE_bbb
                                        ; -- End function
	.section	.AMDGPU.csdata,"",@progbits
; Kernel info:
; codeLenInByte = 1652
; NumSgprs: 30
; NumVgprs: 43
; NumAgprs: 0
; TotalNumVgprs: 43
; ScratchSize: 0
; MemoryBound: 0
; FloatMode: 240
; IeeeMode: 1
; LDSByteSize: 2304 bytes/workgroup (compile time only)
; SGPRBlocks: 3
; VGPRBlocks: 5
; NumSGPRsForWavesPerEU: 30
; NumVGPRsForWavesPerEU: 43
; AccumOffset: 44
; Occupancy: 8
; WaveLimiterHint : 1
; COMPUTE_PGM_RSRC2:SCRATCH_EN: 0
; COMPUTE_PGM_RSRC2:USER_SGPR: 6
; COMPUTE_PGM_RSRC2:TRAP_HANDLER: 0
; COMPUTE_PGM_RSRC2:TGID_X_EN: 1
; COMPUTE_PGM_RSRC2:TGID_Y_EN: 0
; COMPUTE_PGM_RSRC2:TGID_Z_EN: 0
; COMPUTE_PGM_RSRC2:TIDIG_COMP_CNT: 0
; COMPUTE_PGM_RSRC3_GFX90A:ACCUM_OFFSET: 10
; COMPUTE_PGM_RSRC3_GFX90A:TG_SPLIT: 0
	.section	.text._ZN9rocsparseL29csrgeam_fill_multipass_kernelILj256ELj32ElldEEvllNS_24const_host_device_scalarIT3_EEPKT1_PKT2_PKS2_S3_S6_S9_SB_S6_PS7_PS2_21rocsparse_index_base_SE_SE_bbb,"axG",@progbits,_ZN9rocsparseL29csrgeam_fill_multipass_kernelILj256ELj32ElldEEvllNS_24const_host_device_scalarIT3_EEPKT1_PKT2_PKS2_S3_S6_S9_SB_S6_PS7_PS2_21rocsparse_index_base_SE_SE_bbb,comdat
	.globl	_ZN9rocsparseL29csrgeam_fill_multipass_kernelILj256ELj32ElldEEvllNS_24const_host_device_scalarIT3_EEPKT1_PKT2_PKS2_S3_S6_S9_SB_S6_PS7_PS2_21rocsparse_index_base_SE_SE_bbb ; -- Begin function _ZN9rocsparseL29csrgeam_fill_multipass_kernelILj256ELj32ElldEEvllNS_24const_host_device_scalarIT3_EEPKT1_PKT2_PKS2_S3_S6_S9_SB_S6_PS7_PS2_21rocsparse_index_base_SE_SE_bbb
	.p2align	8
	.type	_ZN9rocsparseL29csrgeam_fill_multipass_kernelILj256ELj32ElldEEvllNS_24const_host_device_scalarIT3_EEPKT1_PKT2_PKS2_S3_S6_S9_SB_S6_PS7_PS2_21rocsparse_index_base_SE_SE_bbb,@function
_ZN9rocsparseL29csrgeam_fill_multipass_kernelILj256ELj32ElldEEvllNS_24const_host_device_scalarIT3_EEPKT1_PKT2_PKS2_S3_S6_S9_SB_S6_PS7_PS2_21rocsparse_index_base_SE_SE_bbb: ; @_ZN9rocsparseL29csrgeam_fill_multipass_kernelILj256ELj32ElldEEvllNS_24const_host_device_scalarIT3_EEPKT1_PKT2_PKS2_S3_S6_S9_SB_S6_PS7_PS2_21rocsparse_index_base_SE_SE_bbb
; %bb.0:
	s_load_dwordx4 s[16:19], s[4:5], 0x68
	s_load_dword s7, s[4:5], 0x74
	s_load_dwordx2 s[8:9], s[4:5], 0x30
	s_load_dwordx4 s[0:3], s[4:5], 0x0
	s_load_dwordx2 s[12:13], s[4:5], 0x10
	s_waitcnt lgkmcnt(0)
	s_and_b32 s14, 1, s19
	s_bitcmp1_b32 s7, 16
	s_cselect_b64 s[10:11], -1, 0
	s_cmp_eq_u32 s14, 1
	s_cselect_b64 s[14:15], -1, 0
	s_and_b64 s[20:21], s[14:15], exec
	s_cselect_b32 s21, s13, 0
	s_cselect_b32 s20, s12, 0
	s_xor_b64 s[14:15], s[14:15], -1
	s_or_b64 s[14:15], s[14:15], s[10:11]
	s_and_b64 vcc, exec, s[14:15]
	v_pk_mov_b32 v[10:11], s[20:21], s[20:21] op_sel:[0,1]
	s_cbranch_vccnz .LBB10_2
; %bb.1:
	v_pk_mov_b32 v[2:3], s[12:13], s[12:13] op_sel:[0,1]
	flat_load_dwordx2 v[10:11], v[2:3]
.LBB10_2:
	s_bitcmp1_b32 s7, 8
	s_cselect_b64 s[12:13], -1, 0
	s_and_b64 s[14:15], s[12:13], exec
	s_cselect_b32 s15, s9, 0
	s_cselect_b32 s14, s8, 0
	s_xor_b64 s[12:13], s[12:13], -1
	s_or_b64 s[10:11], s[12:13], s[10:11]
	s_and_b64 vcc, exec, s[10:11]
	v_pk_mov_b32 v[12:13], s[14:15], s[14:15] op_sel:[0,1]
	s_cbranch_vccnz .LBB10_4
; %bb.3:
	v_pk_mov_b32 v[2:3], s[8:9], s[8:9] op_sel:[0,1]
	flat_load_dwordx2 v[12:13], v[2:3]
.LBB10_4:
	s_lshl_b32 s6, s6, 3
	v_lshrrev_b32_e32 v1, 5, v0
	s_and_b32 s6, s6, 0x7fffff8
	v_or_b32_e32 v2, s6, v1
	v_mov_b32_e32 v3, 0
	v_cmp_gt_i64_e32 vcc, s[0:1], v[2:3]
	s_and_saveexec_b64 s[0:1], vcc
	s_cbranch_execz .LBB10_33
; %bb.5:
	s_load_dwordx4 s[8:11], s[4:5], 0x18
	s_load_dwordx4 s[12:15], s[4:5], 0x38
	;; [unrolled: 1-line block ×3, first 2 shown]
	v_lshlrev_b32_e32 v1, 3, v2
	s_load_dwordx2 s[0:1], s[4:5], 0x60
	v_pk_mov_b32 v[18:19], s[2:3], s[2:3] op_sel:[0,1]
	s_waitcnt lgkmcnt(0)
	global_load_dwordx4 v[2:5], v1, s[8:9]
	global_load_dwordx4 v[6:9], v1, s[12:13]
	global_load_dwordx2 v[16:17], v1, s[20:21]
	s_mov_b32 s20, 0
	s_mov_b32 s21, s16
	;; [unrolled: 1-line block ×3, first 2 shown]
	s_waitcnt vmcnt(0)
	v_subrev_co_u32_e32 v14, vcc, s16, v2
	v_subbrev_co_u32_e32 v15, vcc, 0, v3, vcc
	v_cmp_lt_i64_e32 vcc, v[2:3], v[4:5]
	s_and_saveexec_b64 s[6:7], vcc
	s_cbranch_execz .LBB10_7
; %bb.6:
	v_lshlrev_b64 v[2:3], 3, v[14:15]
	v_mov_b32_e32 v1, s11
	v_add_co_u32_e32 v2, vcc, s10, v2
	v_addc_co_u32_e32 v3, vcc, v1, v3, vcc
	global_load_dwordx2 v[2:3], v[2:3], off
	v_mov_b32_e32 v1, s24
	s_waitcnt vmcnt(0)
	v_subrev_co_u32_e32 v18, vcc, s21, v2
	v_subb_co_u32_e32 v19, vcc, v3, v1, vcc
.LBB10_7:
	s_or_b64 exec, exec, s[6:7]
	s_load_dwordx2 s[6:7], s[4:5], 0x48
	s_load_dwordx2 s[8:9], s[4:5], 0x28
	v_subrev_co_u32_e32 v20, vcc, s17, v6
	v_subbrev_co_u32_e32 v21, vcc, 0, v7, vcc
	s_mov_b32 s25, s17
	v_cmp_lt_i64_e32 vcc, v[6:7], v[8:9]
	v_pk_mov_b32 v[22:23], s[2:3], s[2:3] op_sel:[0,1]
	s_and_saveexec_b64 s[4:5], vcc
	s_cbranch_execz .LBB10_9
; %bb.8:
	v_lshlrev_b64 v[2:3], 3, v[20:21]
	v_mov_b32_e32 v1, s15
	v_add_co_u32_e32 v2, vcc, s14, v2
	v_addc_co_u32_e32 v3, vcc, v1, v3, vcc
	global_load_dwordx2 v[2:3], v[2:3], off
	v_mov_b32_e32 v1, s20
	s_waitcnt vmcnt(0)
	v_subrev_co_u32_e32 v22, vcc, s25, v2
	v_subb_co_u32_e32 v23, vcc, v3, v1, vcc
.LBB10_9:
	s_or_b64 exec, exec, s[4:5]
	v_and_b32_e32 v1, 0xe0, v0
	v_or_b32_e32 v7, 0x800, v1
	v_lshlrev_b32_e32 v30, 3, v1
	v_mov_b32_e32 v1, s24
	v_subrev_co_u32_e32 v2, vcc, s21, v4
	v_subb_co_u32_e32 v3, vcc, v5, v1, vcc
	v_mov_b32_e32 v1, s20
	v_subrev_co_u32_e32 v4, vcc, s25, v8
	v_subb_co_u32_e32 v5, vcc, v9, v1, vcc
	v_subrev_co_u32_e32 v6, vcc, s18, v16
	v_subbrev_co_u32_e32 v1, vcc, 0, v17, vcc
	v_and_b32_e32 v9, 31, v0
	v_cmp_lt_i64_e32 vcc, v[22:23], v[18:19]
	v_cndmask_b32_e32 v19, v19, v23, vcc
	v_cndmask_b32_e32 v18, v18, v22, vcc
	v_add_co_u32_e32 v14, vcc, v14, v9
	v_addc_co_u32_e32 v15, vcc, 0, v15, vcc
	v_add_co_u32_e32 v16, vcc, v20, v9
	v_mbcnt_lo_u32_b32 v20, -1, 0
	v_mbcnt_hi_u32_b32 v20, -1, v20
	v_addc_co_u32_e32 v17, vcc, 0, v21, vcc
	v_and_b32_e32 v21, 64, v20
	v_xor_b32_e32 v22, 31, v9
	v_add_u32_e32 v21, 64, v21
	v_lshrrev_b32_e64 v31, v22, -1
	v_add_co_u32_e32 v32, vcc, s18, v9
	v_xor_b32_e32 v22, 16, v20
	v_addc_co_u32_e64 v33, s[4:5], 0, 0, vcc
	v_cmp_lt_i32_e32 vcc, v22, v21
	v_cndmask_b32_e32 v22, v20, v22, vcc
	v_lshlrev_b32_e32 v34, 2, v22
	v_xor_b32_e32 v22, 8, v20
	v_cmp_lt_i32_e32 vcc, v22, v21
	v_cndmask_b32_e32 v22, v20, v22, vcc
	v_lshlrev_b32_e32 v35, 2, v22
	v_xor_b32_e32 v22, 4, v20
	;; [unrolled: 4-line block ×4, first 2 shown]
	s_add_u32 s22, s22, -8
	v_cmp_lt_i32_e32 vcc, v22, v21
	s_addc_u32 s23, s23, -1
	v_mov_b32_e32 v8, 0
	v_cndmask_b32_e32 v20, v20, v22, vcc
	s_add_u32 s26, s0, -8
	v_lshl_or_b32 v0, v9, 3, v30
	v_lshlrev_b32_e32 v38, 2, v20
	s_addc_u32 s27, s1, -1
	s_mov_b64 s[4:5], 0
	v_add_u32_e32 v39, v7, v9
	v_mov_b32_e32 v9, v8
	v_mov_b32_e32 v40, 1
	s_branch .LBB10_11
.LBB10_10:                              ;   in Loop: Header=BB10_11 Depth=1
	s_or_b64 exec, exec, s[12:13]
	ds_bpermute_b32 v18, v34, v20
	ds_bpermute_b32 v19, v34, v21
	s_waitcnt lgkmcnt(0)
	v_cmp_lt_i64_e64 s[0:1], v[18:19], v[20:21]
	v_cndmask_b32_e64 v19, v21, v19, s[0:1]
	v_cndmask_b32_e64 v18, v20, v18, s[0:1]
	ds_bpermute_b32 v21, v35, v19
	ds_bpermute_b32 v20, v35, v18
	s_waitcnt lgkmcnt(0)
	v_cmp_lt_i64_e64 s[0:1], v[20:21], v[18:19]
	v_cndmask_b32_e64 v19, v19, v21, s[0:1]
	v_cndmask_b32_e64 v18, v18, v20, s[0:1]
	;; [unrolled: 6-line block ×4, first 2 shown]
	ds_bpermute_b32 v21, v38, v19
	ds_bpermute_b32 v20, v38, v18
	s_bcnt1_i32_b64 s0, vcc
	s_waitcnt lgkmcnt(0)
	v_cmp_lt_i64_e32 vcc, v[20:21], v[18:19]
	v_cndmask_b32_e32 v19, v19, v21, vcc
	v_cndmask_b32_e32 v18, v18, v20, vcc
	v_cmp_le_i64_e32 vcc, s[2:3], v[18:19]
	s_or_b64 s[4:5], vcc, s[4:5]
	v_add_co_u32_e32 v6, vcc, s0, v6
	v_addc_co_u32_e32 v1, vcc, 0, v1, vcc
	s_andn2_b64 exec, exec, s[4:5]
	s_cbranch_execz .LBB10_33
.LBB10_11:                              ; =>This Loop Header: Depth=1
                                        ;     Child Loop BB10_14 Depth 2
                                        ;     Child Loop BB10_24 Depth 2
	v_cmp_lt_i64_e32 vcc, v[14:15], v[2:3]
	v_pk_mov_b32 v[20:21], s[2:3], s[2:3] op_sel:[0,1]
	ds_write_b8 v39, v8
	ds_write_b64 v0, v[8:9]
	s_waitcnt lgkmcnt(0)
	s_and_saveexec_b64 s[12:13], vcc
	s_cbranch_execz .LBB10_21
; %bb.12:                               ;   in Loop: Header=BB10_11 Depth=1
	v_lshlrev_b64 v[20:21], 3, v[14:15]
	v_mov_b32_e32 v23, s11
	v_add_co_u32_e32 v22, vcc, s10, v20
	v_addc_co_u32_e32 v23, vcc, v23, v21, vcc
	v_mov_b32_e32 v25, s9
	v_add_co_u32_e32 v24, vcc, s8, v20
	v_addc_co_u32_e32 v25, vcc, v25, v21, vcc
	s_mov_b64 s[16:17], 0
	v_pk_mov_b32 v[20:21], s[2:3], s[2:3] op_sel:[0,1]
	s_branch .LBB10_14
.LBB10_13:                              ;   in Loop: Header=BB10_14 Depth=2
	s_or_b64 exec, exec, s[0:1]
	s_and_b64 s[0:1], exec, s[18:19]
	s_or_b64 s[16:17], s[0:1], s[16:17]
	s_andn2_b64 exec, exec, s[16:17]
	s_cbranch_execz .LBB10_20
.LBB10_14:                              ;   Parent Loop BB10_11 Depth=1
                                        ; =>  This Inner Loop Header: Depth=2
	global_load_dwordx2 v[26:27], v[22:23], off
	v_mov_b32_e32 v29, s24
	s_waitcnt vmcnt(0)
	v_subrev_co_u32_e32 v28, vcc, s21, v26
	v_subb_co_u32_e32 v29, vcc, v27, v29, vcc
	v_sub_co_u32_e32 v26, vcc, v28, v18
	v_subb_co_u32_e32 v27, vcc, v29, v19, vcc
	v_cmp_gt_i64_e32 vcc, 32, v[26:27]
	v_cmp_lt_i64_e64 s[0:1], 31, v[26:27]
	s_and_saveexec_b64 s[18:19], s[0:1]
	s_xor_b64 s[18:19], exec, s[18:19]
	s_cbranch_execnz .LBB10_17
; %bb.15:                               ;   in Loop: Header=BB10_14 Depth=2
	s_andn2_saveexec_b64 s[0:1], s[18:19]
	s_cbranch_execnz .LBB10_18
.LBB10_16:                              ;   in Loop: Header=BB10_14 Depth=2
	s_or_b64 exec, exec, s[0:1]
	s_mov_b64 s[18:19], -1
	s_and_saveexec_b64 s[0:1], vcc
	s_cbranch_execz .LBB10_13
	s_branch .LBB10_19
.LBB10_17:                              ;   in Loop: Header=BB10_14 Depth=2
	v_cmp_lt_i64_e64 s[0:1], v[28:29], v[20:21]
	v_cndmask_b32_e64 v21, v21, v29, s[0:1]
	v_cndmask_b32_e64 v20, v20, v28, s[0:1]
                                        ; implicit-def: $vgpr26
	s_andn2_saveexec_b64 s[0:1], s[18:19]
	s_cbranch_execz .LBB10_16
.LBB10_18:                              ;   in Loop: Header=BB10_14 Depth=2
	global_load_dwordx2 v[28:29], v[24:25], off
	v_add_u32_e32 v27, v7, v26
	v_lshl_add_u32 v26, v26, 3, v30
	ds_write_b8 v27, v40
	s_waitcnt vmcnt(0)
	v_mul_f64 v[28:29], v[10:11], v[28:29]
	ds_write_b64 v26, v[28:29]
	s_or_b64 exec, exec, s[0:1]
	s_mov_b64 s[18:19], -1
	s_and_saveexec_b64 s[0:1], vcc
	s_cbranch_execz .LBB10_13
.LBB10_19:                              ;   in Loop: Header=BB10_14 Depth=2
	v_add_co_u32_e32 v14, vcc, 32, v14
	v_addc_co_u32_e32 v15, vcc, 0, v15, vcc
	v_add_co_u32_e32 v22, vcc, 0x100, v22
	v_addc_co_u32_e32 v23, vcc, 0, v23, vcc
	;; [unrolled: 2-line block ×3, first 2 shown]
	v_cmp_ge_i64_e32 vcc, v[14:15], v[2:3]
	s_orn2_b64 s[18:19], vcc, exec
	s_branch .LBB10_13
.LBB10_20:                              ;   in Loop: Header=BB10_11 Depth=1
	s_or_b64 exec, exec, s[16:17]
.LBB10_21:                              ;   in Loop: Header=BB10_11 Depth=1
	s_or_b64 exec, exec, s[12:13]
	v_cmp_lt_i64_e32 vcc, v[16:17], v[4:5]
	s_waitcnt lgkmcnt(0)
	s_and_saveexec_b64 s[12:13], vcc
	s_cbranch_execz .LBB10_31
; %bb.22:                               ;   in Loop: Header=BB10_11 Depth=1
	v_lshlrev_b64 v[24:25], 3, v[16:17]
	v_mov_b32_e32 v23, s15
	v_add_co_u32_e32 v22, vcc, s14, v24
	v_addc_co_u32_e32 v23, vcc, v23, v25, vcc
	v_mov_b32_e32 v26, s7
	v_add_co_u32_e32 v24, vcc, s6, v24
	v_addc_co_u32_e32 v25, vcc, v26, v25, vcc
	s_mov_b64 s[16:17], 0
	s_branch .LBB10_24
.LBB10_23:                              ;   in Loop: Header=BB10_24 Depth=2
	s_or_b64 exec, exec, s[0:1]
	s_and_b64 s[0:1], exec, s[18:19]
	s_or_b64 s[16:17], s[0:1], s[16:17]
	s_andn2_b64 exec, exec, s[16:17]
	s_cbranch_execz .LBB10_30
.LBB10_24:                              ;   Parent Loop BB10_11 Depth=1
                                        ; =>  This Inner Loop Header: Depth=2
	global_load_dwordx2 v[26:27], v[22:23], off
	v_mov_b32_e32 v29, s20
	s_waitcnt vmcnt(0)
	v_subrev_co_u32_e32 v28, vcc, s25, v26
	v_subb_co_u32_e32 v29, vcc, v27, v29, vcc
	v_sub_co_u32_e32 v26, vcc, v28, v18
	v_subb_co_u32_e32 v27, vcc, v29, v19, vcc
	v_cmp_gt_i64_e32 vcc, 32, v[26:27]
	v_cmp_lt_i64_e64 s[0:1], 31, v[26:27]
	s_and_saveexec_b64 s[18:19], s[0:1]
	s_xor_b64 s[18:19], exec, s[18:19]
	s_cbranch_execnz .LBB10_27
; %bb.25:                               ;   in Loop: Header=BB10_24 Depth=2
	s_andn2_saveexec_b64 s[0:1], s[18:19]
	s_cbranch_execnz .LBB10_28
.LBB10_26:                              ;   in Loop: Header=BB10_24 Depth=2
	s_or_b64 exec, exec, s[0:1]
	s_mov_b64 s[18:19], -1
	s_and_saveexec_b64 s[0:1], vcc
	s_cbranch_execz .LBB10_23
	s_branch .LBB10_29
.LBB10_27:                              ;   in Loop: Header=BB10_24 Depth=2
	v_cmp_lt_i64_e64 s[0:1], v[28:29], v[20:21]
	v_cndmask_b32_e64 v21, v21, v29, s[0:1]
	v_cndmask_b32_e64 v20, v20, v28, s[0:1]
                                        ; implicit-def: $vgpr26
	s_andn2_saveexec_b64 s[0:1], s[18:19]
	s_cbranch_execz .LBB10_26
.LBB10_28:                              ;   in Loop: Header=BB10_24 Depth=2
	global_load_dwordx2 v[28:29], v[24:25], off
	v_lshl_add_u32 v27, v26, 3, v30
	ds_read_b64 v[42:43], v27
	v_add_u32_e32 v26, v7, v26
	ds_write_b8 v26, v40
	s_waitcnt vmcnt(0) lgkmcnt(1)
	v_fmac_f64_e32 v[42:43], v[12:13], v[28:29]
	ds_write_b64 v27, v[42:43]
	s_or_b64 exec, exec, s[0:1]
	s_mov_b64 s[18:19], -1
	s_and_saveexec_b64 s[0:1], vcc
	s_cbranch_execz .LBB10_23
.LBB10_29:                              ;   in Loop: Header=BB10_24 Depth=2
	v_add_co_u32_e32 v16, vcc, 32, v16
	v_addc_co_u32_e32 v17, vcc, 0, v17, vcc
	v_add_co_u32_e32 v22, vcc, 0x100, v22
	v_addc_co_u32_e32 v23, vcc, 0, v23, vcc
	;; [unrolled: 2-line block ×3, first 2 shown]
	v_cmp_ge_i64_e32 vcc, v[16:17], v[4:5]
	s_orn2_b64 s[18:19], vcc, exec
	s_branch .LBB10_23
.LBB10_30:                              ;   in Loop: Header=BB10_11 Depth=1
	s_or_b64 exec, exec, s[16:17]
.LBB10_31:                              ;   in Loop: Header=BB10_11 Depth=1
	s_or_b64 exec, exec, s[12:13]
	s_waitcnt lgkmcnt(0)
	ds_read_u8 v22, v39
	s_waitcnt lgkmcnt(0)
	v_and_b32_e32 v23, 1, v22
	v_cmp_eq_u32_e64 s[0:1], 1, v23
	v_cmp_ne_u16_e32 vcc, 0, v22
	s_and_saveexec_b64 s[12:13], s[0:1]
	s_cbranch_execz .LBB10_10
; %bb.32:                               ;   in Loop: Header=BB10_11 Depth=1
	v_and_b32_e32 v22, vcc_lo, v31
	v_add_co_u32_e64 v18, s[0:1], v32, v18
	v_bcnt_u32_b32 v22, v22, 0
	v_addc_co_u32_e64 v19, s[0:1], v33, v19, s[0:1]
	v_add_co_u32_e64 v22, s[0:1], v6, v22
	v_addc_co_u32_e64 v23, s[0:1], 0, v1, s[0:1]
	v_lshlrev_b64 v[22:23], 3, v[22:23]
	v_mov_b32_e32 v25, s23
	v_add_co_u32_e64 v24, s[0:1], s22, v22
	v_addc_co_u32_e64 v25, s[0:1], v25, v23, s[0:1]
	global_store_dwordx2 v[24:25], v[18:19], off
	ds_read_b64 v[18:19], v0
	v_mov_b32_e32 v24, s27
	v_add_co_u32_e64 v22, s[0:1], s26, v22
	v_addc_co_u32_e64 v23, s[0:1], v24, v23, s[0:1]
	s_waitcnt lgkmcnt(0)
	global_store_dwordx2 v[22:23], v[18:19], off
	s_branch .LBB10_10
.LBB10_33:
	s_endpgm
	.section	.rodata,"a",@progbits
	.p2align	6, 0x0
	.amdhsa_kernel _ZN9rocsparseL29csrgeam_fill_multipass_kernelILj256ELj32ElldEEvllNS_24const_host_device_scalarIT3_EEPKT1_PKT2_PKS2_S3_S6_S9_SB_S6_PS7_PS2_21rocsparse_index_base_SE_SE_bbb
		.amdhsa_group_segment_fixed_size 2304
		.amdhsa_private_segment_fixed_size 0
		.amdhsa_kernarg_size 120
		.amdhsa_user_sgpr_count 6
		.amdhsa_user_sgpr_private_segment_buffer 1
		.amdhsa_user_sgpr_dispatch_ptr 0
		.amdhsa_user_sgpr_queue_ptr 0
		.amdhsa_user_sgpr_kernarg_segment_ptr 1
		.amdhsa_user_sgpr_dispatch_id 0
		.amdhsa_user_sgpr_flat_scratch_init 0
		.amdhsa_user_sgpr_kernarg_preload_length 0
		.amdhsa_user_sgpr_kernarg_preload_offset 0
		.amdhsa_user_sgpr_private_segment_size 0
		.amdhsa_uses_dynamic_stack 0
		.amdhsa_system_sgpr_private_segment_wavefront_offset 0
		.amdhsa_system_sgpr_workgroup_id_x 1
		.amdhsa_system_sgpr_workgroup_id_y 0
		.amdhsa_system_sgpr_workgroup_id_z 0
		.amdhsa_system_sgpr_workgroup_info 0
		.amdhsa_system_vgpr_workitem_id 0
		.amdhsa_next_free_vgpr 44
		.amdhsa_next_free_sgpr 28
		.amdhsa_accum_offset 44
		.amdhsa_reserve_vcc 1
		.amdhsa_reserve_flat_scratch 0
		.amdhsa_float_round_mode_32 0
		.amdhsa_float_round_mode_16_64 0
		.amdhsa_float_denorm_mode_32 3
		.amdhsa_float_denorm_mode_16_64 3
		.amdhsa_dx10_clamp 1
		.amdhsa_ieee_mode 1
		.amdhsa_fp16_overflow 0
		.amdhsa_tg_split 0
		.amdhsa_exception_fp_ieee_invalid_op 0
		.amdhsa_exception_fp_denorm_src 0
		.amdhsa_exception_fp_ieee_div_zero 0
		.amdhsa_exception_fp_ieee_overflow 0
		.amdhsa_exception_fp_ieee_underflow 0
		.amdhsa_exception_fp_ieee_inexact 0
		.amdhsa_exception_int_div_zero 0
	.end_amdhsa_kernel
	.section	.text._ZN9rocsparseL29csrgeam_fill_multipass_kernelILj256ELj32ElldEEvllNS_24const_host_device_scalarIT3_EEPKT1_PKT2_PKS2_S3_S6_S9_SB_S6_PS7_PS2_21rocsparse_index_base_SE_SE_bbb,"axG",@progbits,_ZN9rocsparseL29csrgeam_fill_multipass_kernelILj256ELj32ElldEEvllNS_24const_host_device_scalarIT3_EEPKT1_PKT2_PKS2_S3_S6_S9_SB_S6_PS7_PS2_21rocsparse_index_base_SE_SE_bbb,comdat
.Lfunc_end10:
	.size	_ZN9rocsparseL29csrgeam_fill_multipass_kernelILj256ELj32ElldEEvllNS_24const_host_device_scalarIT3_EEPKT1_PKT2_PKS2_S3_S6_S9_SB_S6_PS7_PS2_21rocsparse_index_base_SE_SE_bbb, .Lfunc_end10-_ZN9rocsparseL29csrgeam_fill_multipass_kernelILj256ELj32ElldEEvllNS_24const_host_device_scalarIT3_EEPKT1_PKT2_PKS2_S3_S6_S9_SB_S6_PS7_PS2_21rocsparse_index_base_SE_SE_bbb
                                        ; -- End function
	.section	.AMDGPU.csdata,"",@progbits
; Kernel info:
; codeLenInByte = 1784
; NumSgprs: 32
; NumVgprs: 44
; NumAgprs: 0
; TotalNumVgprs: 44
; ScratchSize: 0
; MemoryBound: 0
; FloatMode: 240
; IeeeMode: 1
; LDSByteSize: 2304 bytes/workgroup (compile time only)
; SGPRBlocks: 3
; VGPRBlocks: 5
; NumSGPRsForWavesPerEU: 32
; NumVGPRsForWavesPerEU: 44
; AccumOffset: 44
; Occupancy: 8
; WaveLimiterHint : 1
; COMPUTE_PGM_RSRC2:SCRATCH_EN: 0
; COMPUTE_PGM_RSRC2:USER_SGPR: 6
; COMPUTE_PGM_RSRC2:TRAP_HANDLER: 0
; COMPUTE_PGM_RSRC2:TGID_X_EN: 1
; COMPUTE_PGM_RSRC2:TGID_Y_EN: 0
; COMPUTE_PGM_RSRC2:TGID_Z_EN: 0
; COMPUTE_PGM_RSRC2:TIDIG_COMP_CNT: 0
; COMPUTE_PGM_RSRC3_GFX90A:ACCUM_OFFSET: 10
; COMPUTE_PGM_RSRC3_GFX90A:TG_SPLIT: 0
	.section	.text._ZN9rocsparseL29csrgeam_fill_multipass_kernelILj256ELj64ElldEEvllNS_24const_host_device_scalarIT3_EEPKT1_PKT2_PKS2_S3_S6_S9_SB_S6_PS7_PS2_21rocsparse_index_base_SE_SE_bbb,"axG",@progbits,_ZN9rocsparseL29csrgeam_fill_multipass_kernelILj256ELj64ElldEEvllNS_24const_host_device_scalarIT3_EEPKT1_PKT2_PKS2_S3_S6_S9_SB_S6_PS7_PS2_21rocsparse_index_base_SE_SE_bbb,comdat
	.globl	_ZN9rocsparseL29csrgeam_fill_multipass_kernelILj256ELj64ElldEEvllNS_24const_host_device_scalarIT3_EEPKT1_PKT2_PKS2_S3_S6_S9_SB_S6_PS7_PS2_21rocsparse_index_base_SE_SE_bbb ; -- Begin function _ZN9rocsparseL29csrgeam_fill_multipass_kernelILj256ELj64ElldEEvllNS_24const_host_device_scalarIT3_EEPKT1_PKT2_PKS2_S3_S6_S9_SB_S6_PS7_PS2_21rocsparse_index_base_SE_SE_bbb
	.p2align	8
	.type	_ZN9rocsparseL29csrgeam_fill_multipass_kernelILj256ELj64ElldEEvllNS_24const_host_device_scalarIT3_EEPKT1_PKT2_PKS2_S3_S6_S9_SB_S6_PS7_PS2_21rocsparse_index_base_SE_SE_bbb,@function
_ZN9rocsparseL29csrgeam_fill_multipass_kernelILj256ELj64ElldEEvllNS_24const_host_device_scalarIT3_EEPKT1_PKT2_PKS2_S3_S6_S9_SB_S6_PS7_PS2_21rocsparse_index_base_SE_SE_bbb: ; @_ZN9rocsparseL29csrgeam_fill_multipass_kernelILj256ELj64ElldEEvllNS_24const_host_device_scalarIT3_EEPKT1_PKT2_PKS2_S3_S6_S9_SB_S6_PS7_PS2_21rocsparse_index_base_SE_SE_bbb
; %bb.0:
	s_load_dwordx4 s[16:19], s[4:5], 0x68
	s_load_dword s7, s[4:5], 0x74
	s_load_dwordx2 s[8:9], s[4:5], 0x30
	s_load_dwordx4 s[0:3], s[4:5], 0x0
	s_load_dwordx2 s[12:13], s[4:5], 0x10
	s_waitcnt lgkmcnt(0)
	s_and_b32 s14, 1, s19
	s_bitcmp1_b32 s7, 16
	s_cselect_b64 s[10:11], -1, 0
	s_cmp_eq_u32 s14, 1
	s_cselect_b64 s[14:15], -1, 0
	s_and_b64 s[20:21], s[14:15], exec
	s_cselect_b32 s21, s13, 0
	s_cselect_b32 s20, s12, 0
	s_xor_b64 s[14:15], s[14:15], -1
	s_or_b64 s[14:15], s[14:15], s[10:11]
	s_and_b64 vcc, exec, s[14:15]
	v_pk_mov_b32 v[10:11], s[20:21], s[20:21] op_sel:[0,1]
	s_cbranch_vccnz .LBB11_2
; %bb.1:
	v_pk_mov_b32 v[2:3], s[12:13], s[12:13] op_sel:[0,1]
	flat_load_dwordx2 v[10:11], v[2:3]
.LBB11_2:
	s_bitcmp1_b32 s7, 8
	s_cselect_b64 s[12:13], -1, 0
	s_and_b64 s[14:15], s[12:13], exec
	s_cselect_b32 s15, s9, 0
	s_cselect_b32 s14, s8, 0
	s_xor_b64 s[12:13], s[12:13], -1
	s_or_b64 s[10:11], s[12:13], s[10:11]
	s_and_b64 vcc, exec, s[10:11]
	v_pk_mov_b32 v[12:13], s[14:15], s[14:15] op_sel:[0,1]
	s_cbranch_vccnz .LBB11_4
; %bb.3:
	v_pk_mov_b32 v[2:3], s[8:9], s[8:9] op_sel:[0,1]
	flat_load_dwordx2 v[12:13], v[2:3]
.LBB11_4:
	s_lshl_b32 s6, s6, 2
	v_lshrrev_b32_e32 v1, 6, v0
	s_and_b32 s6, s6, 0x3fffffc
	v_or_b32_e32 v2, s6, v1
	v_mov_b32_e32 v3, 0
	v_cmp_gt_i64_e32 vcc, s[0:1], v[2:3]
	s_and_saveexec_b64 s[0:1], vcc
	s_cbranch_execz .LBB11_33
; %bb.5:
	s_load_dwordx4 s[8:11], s[4:5], 0x18
	s_load_dwordx4 s[12:15], s[4:5], 0x38
	;; [unrolled: 1-line block ×3, first 2 shown]
	v_lshlrev_b32_e32 v1, 3, v2
	s_load_dwordx2 s[0:1], s[4:5], 0x60
	v_pk_mov_b32 v[18:19], s[2:3], s[2:3] op_sel:[0,1]
	s_waitcnt lgkmcnt(0)
	global_load_dwordx4 v[2:5], v1, s[8:9]
	global_load_dwordx4 v[6:9], v1, s[12:13]
	global_load_dwordx2 v[16:17], v1, s[20:21]
	s_mov_b32 s20, 0
	s_mov_b32 s21, s16
	s_mov_b32 s24, s20
	s_waitcnt vmcnt(0)
	v_subrev_co_u32_e32 v14, vcc, s16, v2
	v_subbrev_co_u32_e32 v15, vcc, 0, v3, vcc
	v_cmp_lt_i64_e32 vcc, v[2:3], v[4:5]
	s_and_saveexec_b64 s[6:7], vcc
	s_cbranch_execz .LBB11_7
; %bb.6:
	v_lshlrev_b64 v[2:3], 3, v[14:15]
	v_mov_b32_e32 v1, s11
	v_add_co_u32_e32 v2, vcc, s10, v2
	v_addc_co_u32_e32 v3, vcc, v1, v3, vcc
	global_load_dwordx2 v[2:3], v[2:3], off
	v_mov_b32_e32 v1, s24
	s_waitcnt vmcnt(0)
	v_subrev_co_u32_e32 v18, vcc, s21, v2
	v_subb_co_u32_e32 v19, vcc, v3, v1, vcc
.LBB11_7:
	s_or_b64 exec, exec, s[6:7]
	s_load_dwordx2 s[6:7], s[4:5], 0x48
	s_load_dwordx2 s[8:9], s[4:5], 0x28
	v_subrev_co_u32_e32 v22, vcc, s17, v6
	v_subbrev_co_u32_e32 v23, vcc, 0, v7, vcc
	s_mov_b32 s25, s17
	v_cmp_lt_i64_e32 vcc, v[6:7], v[8:9]
	v_pk_mov_b32 v[20:21], s[2:3], s[2:3] op_sel:[0,1]
	s_and_saveexec_b64 s[4:5], vcc
	s_cbranch_execz .LBB11_9
; %bb.8:
	v_lshlrev_b64 v[2:3], 3, v[22:23]
	v_mov_b32_e32 v1, s15
	v_add_co_u32_e32 v2, vcc, s14, v2
	v_addc_co_u32_e32 v3, vcc, v1, v3, vcc
	global_load_dwordx2 v[2:3], v[2:3], off
	v_mov_b32_e32 v1, s20
	s_waitcnt vmcnt(0)
	v_subrev_co_u32_e32 v20, vcc, s25, v2
	v_subb_co_u32_e32 v21, vcc, v3, v1, vcc
.LBB11_9:
	s_or_b64 exec, exec, s[4:5]
	v_and_b32_e32 v1, 0xc0, v0
	v_or_b32_e32 v7, 0x800, v1
	v_lshlrev_b32_e32 v32, 3, v1
	v_mov_b32_e32 v1, s24
	v_subrev_co_u32_e32 v2, vcc, s21, v4
	v_subb_co_u32_e32 v3, vcc, v5, v1, vcc
	v_mov_b32_e32 v1, s20
	v_subrev_co_u32_e32 v4, vcc, s25, v8
	v_subb_co_u32_e32 v5, vcc, v9, v1, vcc
	v_subrev_co_u32_e32 v6, vcc, s18, v16
	v_subbrev_co_u32_e32 v1, vcc, 0, v17, vcc
	v_and_b32_e32 v9, 63, v0
	v_cmp_lt_i64_e32 vcc, v[20:21], v[18:19]
	v_cndmask_b32_e32 v21, v19, v21, vcc
	v_cndmask_b32_e32 v20, v18, v20, vcc
	v_add_co_u32_e32 v14, vcc, v14, v9
	v_addc_co_u32_e32 v15, vcc, 0, v15, vcc
	v_mbcnt_lo_u32_b32 v18, -1, 0
	v_add_co_u32_e32 v16, vcc, v22, v9
	v_mbcnt_hi_u32_b32 v22, -1, v18
	v_addc_co_u32_e32 v17, vcc, 0, v23, vcc
	v_and_b32_e32 v18, 64, v22
	v_add_u32_e32 v23, 64, v18
	v_add_co_u32_e32 v33, vcc, s18, v9
	v_xor_b32_e32 v24, 32, v22
	v_addc_co_u32_e64 v34, s[4:5], 0, 0, vcc
	v_cmp_lt_i32_e32 vcc, v24, v23
	v_cndmask_b32_e32 v24, v22, v24, vcc
	v_lshlrev_b32_e32 v35, 2, v24
	v_xor_b32_e32 v24, 16, v22
	v_cmp_lt_i32_e32 vcc, v24, v23
	v_cndmask_b32_e32 v24, v22, v24, vcc
	v_lshlrev_b32_e32 v36, 2, v24
	v_xor_b32_e32 v24, 8, v22
	;; [unrolled: 4-line block ×5, first 2 shown]
	s_add_u32 s22, s22, -8
	v_cmp_lt_i32_e32 vcc, v24, v23
	s_addc_u32 s23, s23, -1
	v_mov_b32_e32 v8, 0
	v_xor_b32_e32 v18, 63, v9
	v_cndmask_b32_e32 v22, v22, v24, vcc
	s_add_u32 s26, s0, -8
	v_lshl_or_b32 v0, v9, 3, v32
	v_lshrrev_b64 v[18:19], v18, -1
	v_lshlrev_b32_e32 v40, 2, v22
	s_addc_u32 s27, s1, -1
	s_mov_b64 s[4:5], 0
	v_add_u32_e32 v41, v7, v9
	v_mov_b32_e32 v9, v8
	v_mov_b32_e32 v42, 1
	s_branch .LBB11_11
.LBB11_10:                              ;   in Loop: Header=BB11_11 Depth=1
	s_or_b64 exec, exec, s[12:13]
	ds_bpermute_b32 v20, v35, v22
	ds_bpermute_b32 v21, v35, v23
	s_waitcnt lgkmcnt(0)
	v_cmp_lt_i64_e64 s[0:1], v[20:21], v[22:23]
	v_cndmask_b32_e64 v21, v23, v21, s[0:1]
	v_cndmask_b32_e64 v20, v22, v20, s[0:1]
	ds_bpermute_b32 v23, v36, v21
	ds_bpermute_b32 v22, v36, v20
	s_waitcnt lgkmcnt(0)
	v_cmp_lt_i64_e64 s[0:1], v[22:23], v[20:21]
	v_cndmask_b32_e64 v21, v21, v23, s[0:1]
	v_cndmask_b32_e64 v20, v20, v22, s[0:1]
	;; [unrolled: 6-line block ×5, first 2 shown]
	ds_bpermute_b32 v23, v40, v21
	ds_bpermute_b32 v22, v40, v20
	s_bcnt1_i32_b64 s0, vcc
	s_waitcnt lgkmcnt(0)
	v_cmp_lt_i64_e32 vcc, v[22:23], v[20:21]
	v_cndmask_b32_e32 v21, v21, v23, vcc
	v_cndmask_b32_e32 v20, v20, v22, vcc
	v_cmp_le_i64_e32 vcc, s[2:3], v[20:21]
	s_or_b64 s[4:5], vcc, s[4:5]
	v_add_co_u32_e32 v6, vcc, s0, v6
	v_addc_co_u32_e32 v1, vcc, 0, v1, vcc
	s_andn2_b64 exec, exec, s[4:5]
	s_cbranch_execz .LBB11_33
.LBB11_11:                              ; =>This Loop Header: Depth=1
                                        ;     Child Loop BB11_14 Depth 2
                                        ;     Child Loop BB11_24 Depth 2
	v_cmp_lt_i64_e32 vcc, v[14:15], v[2:3]
	v_pk_mov_b32 v[22:23], s[2:3], s[2:3] op_sel:[0,1]
	ds_write_b8 v41, v8
	ds_write_b64 v0, v[8:9]
	s_waitcnt lgkmcnt(0)
	s_and_saveexec_b64 s[12:13], vcc
	s_cbranch_execz .LBB11_21
; %bb.12:                               ;   in Loop: Header=BB11_11 Depth=1
	v_lshlrev_b64 v[22:23], 3, v[14:15]
	v_mov_b32_e32 v25, s11
	v_add_co_u32_e32 v24, vcc, s10, v22
	v_addc_co_u32_e32 v25, vcc, v25, v23, vcc
	v_mov_b32_e32 v27, s9
	v_add_co_u32_e32 v26, vcc, s8, v22
	v_addc_co_u32_e32 v27, vcc, v27, v23, vcc
	s_mov_b64 s[16:17], 0
	v_pk_mov_b32 v[22:23], s[2:3], s[2:3] op_sel:[0,1]
	s_branch .LBB11_14
.LBB11_13:                              ;   in Loop: Header=BB11_14 Depth=2
	s_or_b64 exec, exec, s[0:1]
	s_and_b64 s[0:1], exec, s[18:19]
	s_or_b64 s[16:17], s[0:1], s[16:17]
	s_andn2_b64 exec, exec, s[16:17]
	s_cbranch_execz .LBB11_20
.LBB11_14:                              ;   Parent Loop BB11_11 Depth=1
                                        ; =>  This Inner Loop Header: Depth=2
	global_load_dwordx2 v[28:29], v[24:25], off
	v_mov_b32_e32 v31, s24
	s_waitcnt vmcnt(0)
	v_subrev_co_u32_e32 v30, vcc, s21, v28
	v_subb_co_u32_e32 v31, vcc, v29, v31, vcc
	v_sub_co_u32_e32 v28, vcc, v30, v20
	v_subb_co_u32_e32 v29, vcc, v31, v21, vcc
	v_cmp_gt_i64_e32 vcc, 64, v[28:29]
	v_cmp_lt_i64_e64 s[0:1], 63, v[28:29]
	s_and_saveexec_b64 s[18:19], s[0:1]
	s_xor_b64 s[18:19], exec, s[18:19]
	s_cbranch_execnz .LBB11_17
; %bb.15:                               ;   in Loop: Header=BB11_14 Depth=2
	s_andn2_saveexec_b64 s[0:1], s[18:19]
	s_cbranch_execnz .LBB11_18
.LBB11_16:                              ;   in Loop: Header=BB11_14 Depth=2
	s_or_b64 exec, exec, s[0:1]
	s_mov_b64 s[18:19], -1
	s_and_saveexec_b64 s[0:1], vcc
	s_cbranch_execz .LBB11_13
	s_branch .LBB11_19
.LBB11_17:                              ;   in Loop: Header=BB11_14 Depth=2
	v_cmp_lt_i64_e64 s[0:1], v[30:31], v[22:23]
	v_cndmask_b32_e64 v23, v23, v31, s[0:1]
	v_cndmask_b32_e64 v22, v22, v30, s[0:1]
                                        ; implicit-def: $vgpr28
	s_andn2_saveexec_b64 s[0:1], s[18:19]
	s_cbranch_execz .LBB11_16
.LBB11_18:                              ;   in Loop: Header=BB11_14 Depth=2
	global_load_dwordx2 v[30:31], v[26:27], off
	v_add_u32_e32 v29, v7, v28
	v_lshl_add_u32 v28, v28, 3, v32
	ds_write_b8 v29, v42
	s_waitcnt vmcnt(0)
	v_mul_f64 v[30:31], v[10:11], v[30:31]
	ds_write_b64 v28, v[30:31]
	s_or_b64 exec, exec, s[0:1]
	s_mov_b64 s[18:19], -1
	s_and_saveexec_b64 s[0:1], vcc
	s_cbranch_execz .LBB11_13
.LBB11_19:                              ;   in Loop: Header=BB11_14 Depth=2
	v_add_co_u32_e32 v14, vcc, 64, v14
	v_addc_co_u32_e32 v15, vcc, 0, v15, vcc
	v_add_co_u32_e32 v24, vcc, 0x200, v24
	v_addc_co_u32_e32 v25, vcc, 0, v25, vcc
	;; [unrolled: 2-line block ×3, first 2 shown]
	v_cmp_ge_i64_e32 vcc, v[14:15], v[2:3]
	s_orn2_b64 s[18:19], vcc, exec
	s_branch .LBB11_13
.LBB11_20:                              ;   in Loop: Header=BB11_11 Depth=1
	s_or_b64 exec, exec, s[16:17]
.LBB11_21:                              ;   in Loop: Header=BB11_11 Depth=1
	s_or_b64 exec, exec, s[12:13]
	v_cmp_lt_i64_e32 vcc, v[16:17], v[4:5]
	s_waitcnt lgkmcnt(0)
	s_and_saveexec_b64 s[12:13], vcc
	s_cbranch_execz .LBB11_31
; %bb.22:                               ;   in Loop: Header=BB11_11 Depth=1
	v_lshlrev_b64 v[26:27], 3, v[16:17]
	v_mov_b32_e32 v25, s15
	v_add_co_u32_e32 v24, vcc, s14, v26
	v_addc_co_u32_e32 v25, vcc, v25, v27, vcc
	v_mov_b32_e32 v28, s7
	v_add_co_u32_e32 v26, vcc, s6, v26
	v_addc_co_u32_e32 v27, vcc, v28, v27, vcc
	s_mov_b64 s[16:17], 0
	s_branch .LBB11_24
.LBB11_23:                              ;   in Loop: Header=BB11_24 Depth=2
	s_or_b64 exec, exec, s[0:1]
	s_and_b64 s[0:1], exec, s[18:19]
	s_or_b64 s[16:17], s[0:1], s[16:17]
	s_andn2_b64 exec, exec, s[16:17]
	s_cbranch_execz .LBB11_30
.LBB11_24:                              ;   Parent Loop BB11_11 Depth=1
                                        ; =>  This Inner Loop Header: Depth=2
	global_load_dwordx2 v[28:29], v[24:25], off
	v_mov_b32_e32 v31, s20
	s_waitcnt vmcnt(0)
	v_subrev_co_u32_e32 v30, vcc, s25, v28
	v_subb_co_u32_e32 v31, vcc, v29, v31, vcc
	v_sub_co_u32_e32 v28, vcc, v30, v20
	v_subb_co_u32_e32 v29, vcc, v31, v21, vcc
	v_cmp_gt_i64_e32 vcc, 64, v[28:29]
	v_cmp_lt_i64_e64 s[0:1], 63, v[28:29]
	s_and_saveexec_b64 s[18:19], s[0:1]
	s_xor_b64 s[18:19], exec, s[18:19]
	s_cbranch_execnz .LBB11_27
; %bb.25:                               ;   in Loop: Header=BB11_24 Depth=2
	s_andn2_saveexec_b64 s[0:1], s[18:19]
	s_cbranch_execnz .LBB11_28
.LBB11_26:                              ;   in Loop: Header=BB11_24 Depth=2
	s_or_b64 exec, exec, s[0:1]
	s_mov_b64 s[18:19], -1
	s_and_saveexec_b64 s[0:1], vcc
	s_cbranch_execz .LBB11_23
	s_branch .LBB11_29
.LBB11_27:                              ;   in Loop: Header=BB11_24 Depth=2
	v_cmp_lt_i64_e64 s[0:1], v[30:31], v[22:23]
	v_cndmask_b32_e64 v23, v23, v31, s[0:1]
	v_cndmask_b32_e64 v22, v22, v30, s[0:1]
                                        ; implicit-def: $vgpr28
	s_andn2_saveexec_b64 s[0:1], s[18:19]
	s_cbranch_execz .LBB11_26
.LBB11_28:                              ;   in Loop: Header=BB11_24 Depth=2
	global_load_dwordx2 v[30:31], v[26:27], off
	v_lshl_add_u32 v29, v28, 3, v32
	ds_read_b64 v[44:45], v29
	v_add_u32_e32 v28, v7, v28
	ds_write_b8 v28, v42
	s_waitcnt vmcnt(0) lgkmcnt(1)
	v_fmac_f64_e32 v[44:45], v[12:13], v[30:31]
	ds_write_b64 v29, v[44:45]
	s_or_b64 exec, exec, s[0:1]
	s_mov_b64 s[18:19], -1
	s_and_saveexec_b64 s[0:1], vcc
	s_cbranch_execz .LBB11_23
.LBB11_29:                              ;   in Loop: Header=BB11_24 Depth=2
	v_add_co_u32_e32 v16, vcc, 64, v16
	v_addc_co_u32_e32 v17, vcc, 0, v17, vcc
	v_add_co_u32_e32 v24, vcc, 0x200, v24
	v_addc_co_u32_e32 v25, vcc, 0, v25, vcc
	;; [unrolled: 2-line block ×3, first 2 shown]
	v_cmp_ge_i64_e32 vcc, v[16:17], v[4:5]
	s_orn2_b64 s[18:19], vcc, exec
	s_branch .LBB11_23
.LBB11_30:                              ;   in Loop: Header=BB11_11 Depth=1
	s_or_b64 exec, exec, s[16:17]
.LBB11_31:                              ;   in Loop: Header=BB11_11 Depth=1
	s_or_b64 exec, exec, s[12:13]
	s_waitcnt lgkmcnt(0)
	ds_read_u8 v24, v41
	s_waitcnt lgkmcnt(0)
	v_and_b32_e32 v25, 1, v24
	v_cmp_eq_u32_e64 s[0:1], 1, v25
	v_cmp_ne_u16_e32 vcc, 0, v24
	s_and_saveexec_b64 s[12:13], s[0:1]
	s_cbranch_execz .LBB11_10
; %bb.32:                               ;   in Loop: Header=BB11_11 Depth=1
	v_and_b32_e32 v25, vcc_lo, v18
	v_and_b32_e32 v24, vcc_hi, v19
	v_bcnt_u32_b32 v25, v25, 0
	v_add_co_u32_e64 v20, s[0:1], v33, v20
	v_bcnt_u32_b32 v24, v24, v25
	v_addc_co_u32_e64 v21, s[0:1], v34, v21, s[0:1]
	v_add_co_u32_e64 v24, s[0:1], v6, v24
	v_addc_co_u32_e64 v25, s[0:1], 0, v1, s[0:1]
	v_lshlrev_b64 v[24:25], 3, v[24:25]
	v_mov_b32_e32 v27, s23
	v_add_co_u32_e64 v26, s[0:1], s22, v24
	v_addc_co_u32_e64 v27, s[0:1], v27, v25, s[0:1]
	global_store_dwordx2 v[26:27], v[20:21], off
	ds_read_b64 v[20:21], v0
	v_mov_b32_e32 v26, s27
	v_add_co_u32_e64 v24, s[0:1], s26, v24
	v_addc_co_u32_e64 v25, s[0:1], v26, v25, s[0:1]
	s_waitcnt lgkmcnt(0)
	global_store_dwordx2 v[24:25], v[20:21], off
	s_branch .LBB11_10
.LBB11_33:
	s_endpgm
	.section	.rodata,"a",@progbits
	.p2align	6, 0x0
	.amdhsa_kernel _ZN9rocsparseL29csrgeam_fill_multipass_kernelILj256ELj64ElldEEvllNS_24const_host_device_scalarIT3_EEPKT1_PKT2_PKS2_S3_S6_S9_SB_S6_PS7_PS2_21rocsparse_index_base_SE_SE_bbb
		.amdhsa_group_segment_fixed_size 2304
		.amdhsa_private_segment_fixed_size 0
		.amdhsa_kernarg_size 120
		.amdhsa_user_sgpr_count 6
		.amdhsa_user_sgpr_private_segment_buffer 1
		.amdhsa_user_sgpr_dispatch_ptr 0
		.amdhsa_user_sgpr_queue_ptr 0
		.amdhsa_user_sgpr_kernarg_segment_ptr 1
		.amdhsa_user_sgpr_dispatch_id 0
		.amdhsa_user_sgpr_flat_scratch_init 0
		.amdhsa_user_sgpr_kernarg_preload_length 0
		.amdhsa_user_sgpr_kernarg_preload_offset 0
		.amdhsa_user_sgpr_private_segment_size 0
		.amdhsa_uses_dynamic_stack 0
		.amdhsa_system_sgpr_private_segment_wavefront_offset 0
		.amdhsa_system_sgpr_workgroup_id_x 1
		.amdhsa_system_sgpr_workgroup_id_y 0
		.amdhsa_system_sgpr_workgroup_id_z 0
		.amdhsa_system_sgpr_workgroup_info 0
		.amdhsa_system_vgpr_workitem_id 0
		.amdhsa_next_free_vgpr 46
		.amdhsa_next_free_sgpr 28
		.amdhsa_accum_offset 48
		.amdhsa_reserve_vcc 1
		.amdhsa_reserve_flat_scratch 0
		.amdhsa_float_round_mode_32 0
		.amdhsa_float_round_mode_16_64 0
		.amdhsa_float_denorm_mode_32 3
		.amdhsa_float_denorm_mode_16_64 3
		.amdhsa_dx10_clamp 1
		.amdhsa_ieee_mode 1
		.amdhsa_fp16_overflow 0
		.amdhsa_tg_split 0
		.amdhsa_exception_fp_ieee_invalid_op 0
		.amdhsa_exception_fp_denorm_src 0
		.amdhsa_exception_fp_ieee_div_zero 0
		.amdhsa_exception_fp_ieee_overflow 0
		.amdhsa_exception_fp_ieee_underflow 0
		.amdhsa_exception_fp_ieee_inexact 0
		.amdhsa_exception_int_div_zero 0
	.end_amdhsa_kernel
	.section	.text._ZN9rocsparseL29csrgeam_fill_multipass_kernelILj256ELj64ElldEEvllNS_24const_host_device_scalarIT3_EEPKT1_PKT2_PKS2_S3_S6_S9_SB_S6_PS7_PS2_21rocsparse_index_base_SE_SE_bbb,"axG",@progbits,_ZN9rocsparseL29csrgeam_fill_multipass_kernelILj256ELj64ElldEEvllNS_24const_host_device_scalarIT3_EEPKT1_PKT2_PKS2_S3_S6_S9_SB_S6_PS7_PS2_21rocsparse_index_base_SE_SE_bbb,comdat
.Lfunc_end11:
	.size	_ZN9rocsparseL29csrgeam_fill_multipass_kernelILj256ELj64ElldEEvllNS_24const_host_device_scalarIT3_EEPKT1_PKT2_PKS2_S3_S6_S9_SB_S6_PS7_PS2_21rocsparse_index_base_SE_SE_bbb, .Lfunc_end11-_ZN9rocsparseL29csrgeam_fill_multipass_kernelILj256ELj64ElldEEvllNS_24const_host_device_scalarIT3_EEPKT1_PKT2_PKS2_S3_S6_S9_SB_S6_PS7_PS2_21rocsparse_index_base_SE_SE_bbb
                                        ; -- End function
	.section	.AMDGPU.csdata,"",@progbits
; Kernel info:
; codeLenInByte = 1856
; NumSgprs: 32
; NumVgprs: 46
; NumAgprs: 0
; TotalNumVgprs: 46
; ScratchSize: 0
; MemoryBound: 0
; FloatMode: 240
; IeeeMode: 1
; LDSByteSize: 2304 bytes/workgroup (compile time only)
; SGPRBlocks: 3
; VGPRBlocks: 5
; NumSGPRsForWavesPerEU: 32
; NumVGPRsForWavesPerEU: 46
; AccumOffset: 48
; Occupancy: 8
; WaveLimiterHint : 1
; COMPUTE_PGM_RSRC2:SCRATCH_EN: 0
; COMPUTE_PGM_RSRC2:USER_SGPR: 6
; COMPUTE_PGM_RSRC2:TRAP_HANDLER: 0
; COMPUTE_PGM_RSRC2:TGID_X_EN: 1
; COMPUTE_PGM_RSRC2:TGID_Y_EN: 0
; COMPUTE_PGM_RSRC2:TGID_Z_EN: 0
; COMPUTE_PGM_RSRC2:TIDIG_COMP_CNT: 0
; COMPUTE_PGM_RSRC3_GFX90A:ACCUM_OFFSET: 11
; COMPUTE_PGM_RSRC3_GFX90A:TG_SPLIT: 0
	.section	.text._ZN9rocsparseL29csrgeam_fill_multipass_kernelILj256ELj32Eii21rocsparse_complex_numIfEEEvllNS_24const_host_device_scalarIT3_EEPKT1_PKT2_PKS4_S5_S8_SB_SD_S8_PS9_PS4_21rocsparse_index_base_SG_SG_bbb,"axG",@progbits,_ZN9rocsparseL29csrgeam_fill_multipass_kernelILj256ELj32Eii21rocsparse_complex_numIfEEEvllNS_24const_host_device_scalarIT3_EEPKT1_PKT2_PKS4_S5_S8_SB_SD_S8_PS9_PS4_21rocsparse_index_base_SG_SG_bbb,comdat
	.globl	_ZN9rocsparseL29csrgeam_fill_multipass_kernelILj256ELj32Eii21rocsparse_complex_numIfEEEvllNS_24const_host_device_scalarIT3_EEPKT1_PKT2_PKS4_S5_S8_SB_SD_S8_PS9_PS4_21rocsparse_index_base_SG_SG_bbb ; -- Begin function _ZN9rocsparseL29csrgeam_fill_multipass_kernelILj256ELj32Eii21rocsparse_complex_numIfEEEvllNS_24const_host_device_scalarIT3_EEPKT1_PKT2_PKS4_S5_S8_SB_SD_S8_PS9_PS4_21rocsparse_index_base_SG_SG_bbb
	.p2align	8
	.type	_ZN9rocsparseL29csrgeam_fill_multipass_kernelILj256ELj32Eii21rocsparse_complex_numIfEEEvllNS_24const_host_device_scalarIT3_EEPKT1_PKT2_PKS4_S5_S8_SB_SD_S8_PS9_PS4_21rocsparse_index_base_SG_SG_bbb,@function
_ZN9rocsparseL29csrgeam_fill_multipass_kernelILj256ELj32Eii21rocsparse_complex_numIfEEEvllNS_24const_host_device_scalarIT3_EEPKT1_PKT2_PKS4_S5_S8_SB_SD_S8_PS9_PS4_21rocsparse_index_base_SG_SG_bbb: ; @_ZN9rocsparseL29csrgeam_fill_multipass_kernelILj256ELj32Eii21rocsparse_complex_numIfEEEvllNS_24const_host_device_scalarIT3_EEPKT1_PKT2_PKS4_S5_S8_SB_SD_S8_PS9_PS4_21rocsparse_index_base_SG_SG_bbb
; %bb.0:
	s_load_dwordx8 s[8:15], s[4:5], 0x40
	s_load_dword s7, s[4:5], 0x74
	s_load_dwordx8 s[16:23], s[4:5], 0x0
	s_load_dwordx8 s[24:31], s[4:5], 0x20
	s_load_dwordx2 s[2:3], s[4:5], 0x60
	s_load_dwordx4 s[36:39], s[4:5], 0x68
	s_waitcnt lgkmcnt(0)
	s_bitcmp1_b32 s7, 16
	s_cselect_b64 s[0:1], -1, 0
	s_xor_b64 s[0:1], s[0:1], -1
	s_mov_b32 s5, 0
	v_cndmask_b32_e64 v1, 0, 1, s[0:1]
	s_bitcmp0_b32 s39, 0
	v_cmp_ne_u32_e64 s[0:1], 1, v1
	s_mov_b32 s4, s5
	s_cbranch_scc1 .LBB12_6
; %bb.1:
	s_and_b64 vcc, exec, s[0:1]
	s_mov_b32 s4, s20
	s_cbranch_vccnz .LBB12_3
; %bb.2:
	s_load_dword s4, s[20:21], 0x0
.LBB12_3:
	s_and_b64 vcc, exec, s[0:1]
	s_cbranch_vccnz .LBB12_5
; %bb.4:
	s_load_dword s21, s[20:21], 0x4
.LBB12_5:
	s_waitcnt lgkmcnt(0)
	s_mov_b32 s5, s21
.LBB12_6:
	s_mov_b32 s21, 0
	s_bfe_u32 s7, s7, 0x10008
	s_cmp_eq_u32 s7, 0
	s_mov_b32 s20, s21
	s_cbranch_scc1 .LBB12_12
; %bb.7:
	s_and_b64 vcc, exec, s[0:1]
	s_mov_b32 s20, s28
	s_cbranch_vccnz .LBB12_9
; %bb.8:
	s_load_dword s20, s[28:29], 0x0
.LBB12_9:
	s_and_b64 vcc, exec, s[0:1]
	s_cbranch_vccnz .LBB12_11
; %bb.10:
	s_load_dword s29, s[28:29], 0x4
.LBB12_11:
	s_waitcnt lgkmcnt(0)
	s_mov_b32 s21, s29
.LBB12_12:
	s_lshl_b32 s0, s6, 3
	v_lshrrev_b32_e32 v1, 5, v0
	s_and_b32 s0, s0, 0x7fffff8
	v_or_b32_e32 v2, s0, v1
	v_mov_b32_e32 v3, 0
	v_cmp_gt_i64_e32 vcc, s[16:17], v[2:3]
	s_and_saveexec_b64 s[0:1], vcc
	s_cbranch_execz .LBB12_41
; %bb.13:
	v_lshlrev_b32_e32 v6, 2, v2
	global_load_dwordx2 v[4:5], v6, s[22:23]
	global_load_dwordx2 v[2:3], v6, s[30:31]
	global_load_dword v1, v6, s[12:13]
	s_waitcnt vmcnt(2)
	v_cmp_ge_i32_e32 vcc, v4, v5
	s_and_saveexec_b64 s[0:1], vcc
	s_xor_b64 s[0:1], exec, s[0:1]
	s_or_saveexec_b64 s[0:1], s[0:1]
	v_subrev_u32_e32 v8, s36, v4
	v_mov_b32_e32 v4, s18
	s_xor_b64 exec, exec, s[0:1]
	s_cbranch_execz .LBB12_15
; %bb.14:
	v_ashrrev_i32_e32 v9, 31, v8
	v_lshlrev_b64 v[6:7], 2, v[8:9]
	v_mov_b32_e32 v4, s25
	v_add_co_u32_e32 v6, vcc, s24, v6
	v_addc_co_u32_e32 v7, vcc, v4, v7, vcc
	global_load_dword v4, v[6:7], off
	s_waitcnt vmcnt(0)
	v_subrev_u32_e32 v4, s36, v4
.LBB12_15:
	s_or_b64 exec, exec, s[0:1]
	s_waitcnt vmcnt(1)
	v_cmp_ge_i32_e32 vcc, v2, v3
	s_and_saveexec_b64 s[0:1], vcc
	s_xor_b64 s[0:1], exec, s[0:1]
	s_or_saveexec_b64 s[0:1], s[0:1]
	v_subrev_u32_e32 v10, s37, v2
	v_mov_b32_e32 v11, s18
	v_mov_b32_e32 v2, s18
	s_xor_b64 exec, exec, s[0:1]
	s_cbranch_execz .LBB12_17
; %bb.16:
	v_ashrrev_i32_e32 v11, 31, v10
	v_lshlrev_b64 v[6:7], 2, v[10:11]
	v_mov_b32_e32 v2, s9
	v_add_co_u32_e32 v6, vcc, s8, v6
	v_addc_co_u32_e32 v7, vcc, v2, v7, vcc
	global_load_dword v2, v[6:7], off
	v_mov_b32_e32 v11, s18
	s_waitcnt vmcnt(0)
	v_subrev_u32_e32 v2, s37, v2
.LBB12_17:
	s_or_b64 exec, exec, s[0:1]
	v_subrev_u32_e32 v15, s37, v3
	v_mbcnt_lo_u32_b32 v3, -1, 0
	v_and_b32_e32 v6, 0xe0, v0
	s_waitcnt vmcnt(0)
	v_subrev_u32_e32 v16, s38, v1
	v_and_b32_e32 v1, 31, v0
	v_mbcnt_hi_u32_b32 v3, -1, v3
	v_or_b32_e32 v12, 0x800, v6
	v_lshlrev_b32_e32 v13, 3, v6
	v_min_i32_e32 v6, v2, v4
	v_and_b32_e32 v4, 64, v3
	v_xor_b32_e32 v7, 31, v1
	v_add_u32_e32 v4, 64, v4
	v_lshrrev_b32_e64 v17, v7, -1
	v_xor_b32_e32 v7, 16, v3
	v_cmp_lt_i32_e32 vcc, v7, v4
	v_cndmask_b32_e32 v7, v3, v7, vcc
	v_lshlrev_b32_e32 v19, 2, v7
	v_xor_b32_e32 v7, 8, v3
	v_cmp_lt_i32_e32 vcc, v7, v4
	v_cndmask_b32_e32 v7, v3, v7, vcc
	v_lshlrev_b32_e32 v20, 2, v7
	;; [unrolled: 4-line block ×4, first 2 shown]
	v_xor_b32_e32 v7, 1, v3
	v_cmp_lt_i32_e32 vcc, v7, v4
	v_subrev_u32_e32 v14, s36, v5
	v_mov_b32_e32 v5, 0
	v_cndmask_b32_e32 v3, v3, v7, vcc
	v_add_u32_e32 v0, v8, v1
	v_add_u32_e32 v2, v10, v1
	v_lshl_or_b32 v10, v1, 3, v13
	s_xor_b32 s6, s5, 0x80000000
	s_xor_b32 s12, s21, 0x80000000
	v_add_u32_e32 v18, s38, v1
	v_lshlrev_b32_e32 v23, 2, v3
	s_mov_b32 s7, s4
	s_mov_b32 s13, s20
	s_mov_b64 s[16:17], 0
	v_add_u32_e32 v24, v12, v1
	v_mov_b32_e32 v8, v5
	v_mov_b32_e32 v9, v5
	;; [unrolled: 1-line block ×3, first 2 shown]
	s_branch .LBB12_19
.LBB12_18:                              ;   in Loop: Header=BB12_19 Depth=1
	s_or_b64 exec, exec, s[22:23]
	ds_bpermute_b32 v1, v19, v7
	s_bcnt1_i32_b64 s0, vcc
	v_add_u32_e32 v16, s0, v16
	s_waitcnt lgkmcnt(0)
	v_min_i32_e32 v1, v1, v7
	ds_bpermute_b32 v3, v20, v1
	s_waitcnt lgkmcnt(0)
	v_min_i32_e32 v1, v3, v1
	ds_bpermute_b32 v3, v21, v1
	;; [unrolled: 3-line block ×4, first 2 shown]
	s_waitcnt lgkmcnt(0)
	v_min_i32_e32 v6, v3, v1
	v_ashrrev_i32_e32 v7, 31, v6
	v_cmp_le_i64_e32 vcc, s[18:19], v[6:7]
	s_or_b64 s[16:17], vcc, s[16:17]
	s_andn2_b64 exec, exec, s[16:17]
	s_cbranch_execz .LBB12_41
.LBB12_19:                              ; =>This Loop Header: Depth=1
                                        ;     Child Loop BB12_22 Depth 2
                                        ;     Child Loop BB12_32 Depth 2
	v_cmp_lt_i32_e32 vcc, v0, v14
	v_mov_b32_e32 v7, v11
	ds_write_b8 v24, v5
	ds_write_b64 v10, v[8:9]
	s_waitcnt lgkmcnt(0)
	s_and_saveexec_b64 s[22:23], vcc
	s_cbranch_execz .LBB12_29
; %bb.20:                               ;   in Loop: Header=BB12_19 Depth=1
	s_mov_b64 s[28:29], 0
	v_mov_b32_e32 v7, v11
	s_branch .LBB12_22
.LBB12_21:                              ;   in Loop: Header=BB12_22 Depth=2
	s_or_b64 exec, exec, s[30:31]
	s_and_b64 s[0:1], exec, s[0:1]
	s_or_b64 s[28:29], s[0:1], s[28:29]
	s_andn2_b64 exec, exec, s[28:29]
	s_cbranch_execz .LBB12_28
.LBB12_22:                              ;   Parent Loop BB12_19 Depth=1
                                        ; =>  This Inner Loop Header: Depth=2
	v_ashrrev_i32_e32 v1, 31, v0
	v_lshlrev_b64 v[26:27], 2, v[0:1]
	v_mov_b32_e32 v3, s25
	v_add_co_u32_e32 v26, vcc, s24, v26
	v_addc_co_u32_e32 v27, vcc, v3, v27, vcc
	global_load_dword v3, v[26:27], off
	s_waitcnt vmcnt(0)
	v_subrev_u32_e32 v4, s36, v3
	v_sub_u32_e32 v3, v4, v6
	v_cmp_gt_u32_e32 vcc, 32, v3
	v_cmp_lt_u32_e64 s[0:1], 31, v3
	s_and_saveexec_b64 s[30:31], s[0:1]
	s_xor_b64 s[0:1], exec, s[30:31]
	s_cbranch_execnz .LBB12_25
; %bb.23:                               ;   in Loop: Header=BB12_22 Depth=2
	s_andn2_saveexec_b64 s[30:31], s[0:1]
	s_cbranch_execnz .LBB12_26
.LBB12_24:                              ;   in Loop: Header=BB12_22 Depth=2
	s_or_b64 exec, exec, s[30:31]
	s_mov_b64 s[0:1], -1
	s_and_saveexec_b64 s[30:31], vcc
	s_cbranch_execz .LBB12_21
	s_branch .LBB12_27
.LBB12_25:                              ;   in Loop: Header=BB12_22 Depth=2
	v_min_i32_e32 v7, v4, v7
                                        ; implicit-def: $vgpr3
	s_andn2_saveexec_b64 s[30:31], s[0:1]
	s_cbranch_execz .LBB12_24
.LBB12_26:                              ;   in Loop: Header=BB12_22 Depth=2
	v_lshlrev_b64 v[26:27], 3, v[0:1]
	v_mov_b32_e32 v1, s27
	v_add_co_u32_e64 v26, s[0:1], s26, v26
	v_addc_co_u32_e64 v27, s[0:1], v1, v27, s[0:1]
	global_load_dwordx2 v[26:27], v[26:27], off
	v_add_u32_e32 v1, v12, v3
	ds_write_b8 v1, v25
	v_lshl_add_u32 v1, v3, 3, v13
	s_waitcnt vmcnt(0)
	v_pk_mul_f32 v[28:29], v[26:27], s[6:7] op_sel:[1,0]
	v_pk_fma_f32 v[26:27], s[4:5], v[26:27], v[28:29] op_sel_hi:[1,0,1]
	ds_write_b64 v1, v[26:27]
	s_or_b64 exec, exec, s[30:31]
	s_mov_b64 s[0:1], -1
	s_and_saveexec_b64 s[30:31], vcc
	s_cbranch_execz .LBB12_21
.LBB12_27:                              ;   in Loop: Header=BB12_22 Depth=2
	v_add_u32_e32 v0, 32, v0
	v_cmp_ge_i32_e32 vcc, v0, v14
	s_orn2_b64 s[0:1], vcc, exec
	s_branch .LBB12_21
.LBB12_28:                              ;   in Loop: Header=BB12_19 Depth=1
	s_or_b64 exec, exec, s[28:29]
.LBB12_29:                              ;   in Loop: Header=BB12_19 Depth=1
	s_or_b64 exec, exec, s[22:23]
	v_cmp_lt_i32_e32 vcc, v2, v15
	s_waitcnt lgkmcnt(0)
	s_and_saveexec_b64 s[22:23], vcc
	s_cbranch_execz .LBB12_39
; %bb.30:                               ;   in Loop: Header=BB12_19 Depth=1
	s_mov_b64 s[28:29], 0
	s_branch .LBB12_32
.LBB12_31:                              ;   in Loop: Header=BB12_32 Depth=2
	s_or_b64 exec, exec, s[30:31]
	s_and_b64 s[0:1], exec, s[0:1]
	s_or_b64 s[28:29], s[0:1], s[28:29]
	s_andn2_b64 exec, exec, s[28:29]
	s_cbranch_execz .LBB12_38
.LBB12_32:                              ;   Parent Loop BB12_19 Depth=1
                                        ; =>  This Inner Loop Header: Depth=2
	v_ashrrev_i32_e32 v3, 31, v2
	v_lshlrev_b64 v[26:27], 2, v[2:3]
	v_mov_b32_e32 v1, s9
	v_add_co_u32_e32 v26, vcc, s8, v26
	v_addc_co_u32_e32 v27, vcc, v1, v27, vcc
	global_load_dword v1, v[26:27], off
	s_waitcnt vmcnt(0)
	v_subrev_u32_e32 v4, s37, v1
	v_sub_u32_e32 v1, v4, v6
	v_cmp_gt_u32_e32 vcc, 32, v1
	v_cmp_lt_u32_e64 s[0:1], 31, v1
	s_and_saveexec_b64 s[30:31], s[0:1]
	s_xor_b64 s[0:1], exec, s[30:31]
	s_cbranch_execnz .LBB12_35
; %bb.33:                               ;   in Loop: Header=BB12_32 Depth=2
	s_andn2_saveexec_b64 s[30:31], s[0:1]
	s_cbranch_execnz .LBB12_36
.LBB12_34:                              ;   in Loop: Header=BB12_32 Depth=2
	s_or_b64 exec, exec, s[30:31]
	s_mov_b64 s[0:1], -1
	s_and_saveexec_b64 s[30:31], vcc
	s_cbranch_execz .LBB12_31
	s_branch .LBB12_37
.LBB12_35:                              ;   in Loop: Header=BB12_32 Depth=2
	v_min_i32_e32 v7, v4, v7
                                        ; implicit-def: $vgpr1
	s_andn2_saveexec_b64 s[30:31], s[0:1]
	s_cbranch_execz .LBB12_34
.LBB12_36:                              ;   in Loop: Header=BB12_32 Depth=2
	v_lshlrev_b64 v[26:27], 3, v[2:3]
	v_mov_b32_e32 v3, s11
	v_add_co_u32_e64 v26, s[0:1], s10, v26
	v_addc_co_u32_e64 v27, s[0:1], v3, v27, s[0:1]
	global_load_dwordx2 v[26:27], v[26:27], off
	v_lshl_add_u32 v3, v1, 3, v13
	ds_read_b64 v[28:29], v3
	v_add_u32_e32 v1, v12, v1
	ds_write_b8 v1, v25
	s_waitcnt vmcnt(0) lgkmcnt(1)
	v_pk_fma_f32 v[28:29], s[20:21], v[26:27], v[28:29] op_sel_hi:[1,0,1]
	v_pk_fma_f32 v[26:27], s[12:13], v[26:27], v[28:29] op_sel:[0,1,0]
	ds_write_b64 v3, v[26:27]
	s_or_b64 exec, exec, s[30:31]
	s_mov_b64 s[0:1], -1
	s_and_saveexec_b64 s[30:31], vcc
	s_cbranch_execz .LBB12_31
.LBB12_37:                              ;   in Loop: Header=BB12_32 Depth=2
	v_add_u32_e32 v2, 32, v2
	v_cmp_ge_i32_e32 vcc, v2, v15
	s_orn2_b64 s[0:1], vcc, exec
	s_branch .LBB12_31
.LBB12_38:                              ;   in Loop: Header=BB12_19 Depth=1
	s_or_b64 exec, exec, s[28:29]
.LBB12_39:                              ;   in Loop: Header=BB12_19 Depth=1
	s_or_b64 exec, exec, s[22:23]
	s_waitcnt lgkmcnt(0)
	ds_read_u8 v1, v24
	s_waitcnt lgkmcnt(0)
	v_and_b32_e32 v3, 1, v1
	v_cmp_eq_u32_e64 s[0:1], 1, v3
	v_cmp_ne_u16_e32 vcc, 0, v1
	s_and_saveexec_b64 s[22:23], s[0:1]
	s_cbranch_execz .LBB12_18
; %bb.40:                               ;   in Loop: Header=BB12_19 Depth=1
	v_and_b32_e32 v1, vcc_lo, v17
	v_bcnt_u32_b32 v1, v1, 0
	v_add3_u32 v4, v16, v1, -1
	v_lshlrev_b64 v[26:27], 3, v[4:5]
	v_mov_b32_e32 v1, s3
	v_add_co_u32_e64 v26, s[0:1], s2, v26
	ds_read_b64 v[30:31], v10
	v_addc_co_u32_e64 v27, s[0:1], v1, v27, s[0:1]
	v_lshlrev_b64 v[28:29], 2, v[4:5]
	v_mov_b32_e32 v1, s15
	v_add_co_u32_e64 v28, s[0:1], s14, v28
	v_addc_co_u32_e64 v29, s[0:1], v1, v29, s[0:1]
	v_add_u32_e32 v1, v18, v6
	global_store_dword v[28:29], v1, off
	s_waitcnt lgkmcnt(0)
	global_store_dwordx2 v[26:27], v[30:31], off
	s_branch .LBB12_18
.LBB12_41:
	s_endpgm
	.section	.rodata,"a",@progbits
	.p2align	6, 0x0
	.amdhsa_kernel _ZN9rocsparseL29csrgeam_fill_multipass_kernelILj256ELj32Eii21rocsparse_complex_numIfEEEvllNS_24const_host_device_scalarIT3_EEPKT1_PKT2_PKS4_S5_S8_SB_SD_S8_PS9_PS4_21rocsparse_index_base_SG_SG_bbb
		.amdhsa_group_segment_fixed_size 2304
		.amdhsa_private_segment_fixed_size 0
		.amdhsa_kernarg_size 120
		.amdhsa_user_sgpr_count 6
		.amdhsa_user_sgpr_private_segment_buffer 1
		.amdhsa_user_sgpr_dispatch_ptr 0
		.amdhsa_user_sgpr_queue_ptr 0
		.amdhsa_user_sgpr_kernarg_segment_ptr 1
		.amdhsa_user_sgpr_dispatch_id 0
		.amdhsa_user_sgpr_flat_scratch_init 0
		.amdhsa_user_sgpr_kernarg_preload_length 0
		.amdhsa_user_sgpr_kernarg_preload_offset 0
		.amdhsa_user_sgpr_private_segment_size 0
		.amdhsa_uses_dynamic_stack 0
		.amdhsa_system_sgpr_private_segment_wavefront_offset 0
		.amdhsa_system_sgpr_workgroup_id_x 1
		.amdhsa_system_sgpr_workgroup_id_y 0
		.amdhsa_system_sgpr_workgroup_id_z 0
		.amdhsa_system_sgpr_workgroup_info 0
		.amdhsa_system_vgpr_workitem_id 0
		.amdhsa_next_free_vgpr 32
		.amdhsa_next_free_sgpr 40
		.amdhsa_accum_offset 32
		.amdhsa_reserve_vcc 1
		.amdhsa_reserve_flat_scratch 0
		.amdhsa_float_round_mode_32 0
		.amdhsa_float_round_mode_16_64 0
		.amdhsa_float_denorm_mode_32 3
		.amdhsa_float_denorm_mode_16_64 3
		.amdhsa_dx10_clamp 1
		.amdhsa_ieee_mode 1
		.amdhsa_fp16_overflow 0
		.amdhsa_tg_split 0
		.amdhsa_exception_fp_ieee_invalid_op 0
		.amdhsa_exception_fp_denorm_src 0
		.amdhsa_exception_fp_ieee_div_zero 0
		.amdhsa_exception_fp_ieee_overflow 0
		.amdhsa_exception_fp_ieee_underflow 0
		.amdhsa_exception_fp_ieee_inexact 0
		.amdhsa_exception_int_div_zero 0
	.end_amdhsa_kernel
	.section	.text._ZN9rocsparseL29csrgeam_fill_multipass_kernelILj256ELj32Eii21rocsparse_complex_numIfEEEvllNS_24const_host_device_scalarIT3_EEPKT1_PKT2_PKS4_S5_S8_SB_SD_S8_PS9_PS4_21rocsparse_index_base_SG_SG_bbb,"axG",@progbits,_ZN9rocsparseL29csrgeam_fill_multipass_kernelILj256ELj32Eii21rocsparse_complex_numIfEEEvllNS_24const_host_device_scalarIT3_EEPKT1_PKT2_PKS4_S5_S8_SB_SD_S8_PS9_PS4_21rocsparse_index_base_SG_SG_bbb,comdat
.Lfunc_end12:
	.size	_ZN9rocsparseL29csrgeam_fill_multipass_kernelILj256ELj32Eii21rocsparse_complex_numIfEEEvllNS_24const_host_device_scalarIT3_EEPKT1_PKT2_PKS4_S5_S8_SB_SD_S8_PS9_PS4_21rocsparse_index_base_SG_SG_bbb, .Lfunc_end12-_ZN9rocsparseL29csrgeam_fill_multipass_kernelILj256ELj32Eii21rocsparse_complex_numIfEEEvllNS_24const_host_device_scalarIT3_EEPKT1_PKT2_PKS4_S5_S8_SB_SD_S8_PS9_PS4_21rocsparse_index_base_SG_SG_bbb
                                        ; -- End function
	.section	.AMDGPU.csdata,"",@progbits
; Kernel info:
; codeLenInByte = 1524
; NumSgprs: 44
; NumVgprs: 32
; NumAgprs: 0
; TotalNumVgprs: 32
; ScratchSize: 0
; MemoryBound: 0
; FloatMode: 240
; IeeeMode: 1
; LDSByteSize: 2304 bytes/workgroup (compile time only)
; SGPRBlocks: 5
; VGPRBlocks: 3
; NumSGPRsForWavesPerEU: 44
; NumVGPRsForWavesPerEU: 32
; AccumOffset: 32
; Occupancy: 8
; WaveLimiterHint : 1
; COMPUTE_PGM_RSRC2:SCRATCH_EN: 0
; COMPUTE_PGM_RSRC2:USER_SGPR: 6
; COMPUTE_PGM_RSRC2:TRAP_HANDLER: 0
; COMPUTE_PGM_RSRC2:TGID_X_EN: 1
; COMPUTE_PGM_RSRC2:TGID_Y_EN: 0
; COMPUTE_PGM_RSRC2:TGID_Z_EN: 0
; COMPUTE_PGM_RSRC2:TIDIG_COMP_CNT: 0
; COMPUTE_PGM_RSRC3_GFX90A:ACCUM_OFFSET: 7
; COMPUTE_PGM_RSRC3_GFX90A:TG_SPLIT: 0
	.section	.text._ZN9rocsparseL29csrgeam_fill_multipass_kernelILj256ELj64Eii21rocsparse_complex_numIfEEEvllNS_24const_host_device_scalarIT3_EEPKT1_PKT2_PKS4_S5_S8_SB_SD_S8_PS9_PS4_21rocsparse_index_base_SG_SG_bbb,"axG",@progbits,_ZN9rocsparseL29csrgeam_fill_multipass_kernelILj256ELj64Eii21rocsparse_complex_numIfEEEvllNS_24const_host_device_scalarIT3_EEPKT1_PKT2_PKS4_S5_S8_SB_SD_S8_PS9_PS4_21rocsparse_index_base_SG_SG_bbb,comdat
	.globl	_ZN9rocsparseL29csrgeam_fill_multipass_kernelILj256ELj64Eii21rocsparse_complex_numIfEEEvllNS_24const_host_device_scalarIT3_EEPKT1_PKT2_PKS4_S5_S8_SB_SD_S8_PS9_PS4_21rocsparse_index_base_SG_SG_bbb ; -- Begin function _ZN9rocsparseL29csrgeam_fill_multipass_kernelILj256ELj64Eii21rocsparse_complex_numIfEEEvllNS_24const_host_device_scalarIT3_EEPKT1_PKT2_PKS4_S5_S8_SB_SD_S8_PS9_PS4_21rocsparse_index_base_SG_SG_bbb
	.p2align	8
	.type	_ZN9rocsparseL29csrgeam_fill_multipass_kernelILj256ELj64Eii21rocsparse_complex_numIfEEEvllNS_24const_host_device_scalarIT3_EEPKT1_PKT2_PKS4_S5_S8_SB_SD_S8_PS9_PS4_21rocsparse_index_base_SG_SG_bbb,@function
_ZN9rocsparseL29csrgeam_fill_multipass_kernelILj256ELj64Eii21rocsparse_complex_numIfEEEvllNS_24const_host_device_scalarIT3_EEPKT1_PKT2_PKS4_S5_S8_SB_SD_S8_PS9_PS4_21rocsparse_index_base_SG_SG_bbb: ; @_ZN9rocsparseL29csrgeam_fill_multipass_kernelILj256ELj64Eii21rocsparse_complex_numIfEEEvllNS_24const_host_device_scalarIT3_EEPKT1_PKT2_PKS4_S5_S8_SB_SD_S8_PS9_PS4_21rocsparse_index_base_SG_SG_bbb
; %bb.0:
	s_load_dwordx8 s[8:15], s[4:5], 0x40
	s_load_dword s7, s[4:5], 0x74
	s_load_dwordx8 s[16:23], s[4:5], 0x0
	s_load_dwordx8 s[24:31], s[4:5], 0x20
	s_load_dwordx2 s[2:3], s[4:5], 0x60
	s_load_dwordx4 s[36:39], s[4:5], 0x68
	s_waitcnt lgkmcnt(0)
	s_bitcmp1_b32 s7, 16
	s_cselect_b64 s[0:1], -1, 0
	s_xor_b64 s[0:1], s[0:1], -1
	s_mov_b32 s5, 0
	v_cndmask_b32_e64 v1, 0, 1, s[0:1]
	s_bitcmp0_b32 s39, 0
	v_cmp_ne_u32_e64 s[0:1], 1, v1
	s_mov_b32 s4, s5
	s_cbranch_scc1 .LBB13_6
; %bb.1:
	s_and_b64 vcc, exec, s[0:1]
	s_mov_b32 s4, s20
	s_cbranch_vccnz .LBB13_3
; %bb.2:
	s_load_dword s4, s[20:21], 0x0
.LBB13_3:
	s_and_b64 vcc, exec, s[0:1]
	s_cbranch_vccnz .LBB13_5
; %bb.4:
	s_load_dword s21, s[20:21], 0x4
.LBB13_5:
	s_waitcnt lgkmcnt(0)
	s_mov_b32 s5, s21
.LBB13_6:
	s_mov_b32 s21, 0
	s_bfe_u32 s7, s7, 0x10008
	s_cmp_eq_u32 s7, 0
	s_mov_b32 s20, s21
	s_cbranch_scc1 .LBB13_12
; %bb.7:
	s_and_b64 vcc, exec, s[0:1]
	s_mov_b32 s20, s28
	s_cbranch_vccnz .LBB13_9
; %bb.8:
	s_load_dword s20, s[28:29], 0x0
.LBB13_9:
	s_and_b64 vcc, exec, s[0:1]
	s_cbranch_vccnz .LBB13_11
; %bb.10:
	s_load_dword s29, s[28:29], 0x4
.LBB13_11:
	s_waitcnt lgkmcnt(0)
	s_mov_b32 s21, s29
.LBB13_12:
	s_lshl_b32 s0, s6, 2
	v_lshrrev_b32_e32 v1, 6, v0
	s_and_b32 s0, s0, 0x3fffffc
	v_or_b32_e32 v2, s0, v1
	v_mov_b32_e32 v3, 0
	v_cmp_gt_i64_e32 vcc, s[16:17], v[2:3]
	s_and_saveexec_b64 s[0:1], vcc
	s_cbranch_execz .LBB13_41
; %bb.13:
	v_lshlrev_b32_e32 v6, 2, v2
	global_load_dwordx2 v[4:5], v6, s[22:23]
	global_load_dwordx2 v[2:3], v6, s[30:31]
	global_load_dword v1, v6, s[12:13]
	s_waitcnt vmcnt(2)
	v_cmp_ge_i32_e32 vcc, v4, v5
	s_and_saveexec_b64 s[0:1], vcc
	s_xor_b64 s[0:1], exec, s[0:1]
	s_or_saveexec_b64 s[0:1], s[0:1]
	v_subrev_u32_e32 v6, s36, v4
	v_mov_b32_e32 v4, s18
	s_xor_b64 exec, exec, s[0:1]
	s_cbranch_execz .LBB13_15
; %bb.14:
	v_ashrrev_i32_e32 v7, 31, v6
	v_lshlrev_b64 v[8:9], 2, v[6:7]
	v_mov_b32_e32 v4, s25
	v_add_co_u32_e32 v8, vcc, s24, v8
	v_addc_co_u32_e32 v9, vcc, v4, v9, vcc
	global_load_dword v4, v[8:9], off
	s_waitcnt vmcnt(0)
	v_subrev_u32_e32 v4, s36, v4
.LBB13_15:
	s_or_b64 exec, exec, s[0:1]
	s_waitcnt vmcnt(1)
	v_cmp_ge_i32_e32 vcc, v2, v3
	s_and_saveexec_b64 s[0:1], vcc
	s_xor_b64 s[0:1], exec, s[0:1]
	s_or_saveexec_b64 s[0:1], s[0:1]
	v_subrev_u32_e32 v10, s37, v2
	v_mov_b32_e32 v12, s18
	v_mov_b32_e32 v2, s18
	s_xor_b64 exec, exec, s[0:1]
	s_cbranch_execz .LBB13_17
; %bb.16:
	v_ashrrev_i32_e32 v11, 31, v10
	v_lshlrev_b64 v[8:9], 2, v[10:11]
	v_mov_b32_e32 v2, s9
	v_add_co_u32_e32 v8, vcc, s8, v8
	v_addc_co_u32_e32 v9, vcc, v2, v9, vcc
	global_load_dword v2, v[8:9], off
	v_mov_b32_e32 v12, s18
	s_waitcnt vmcnt(0)
	v_subrev_u32_e32 v2, s37, v2
.LBB13_17:
	s_or_b64 exec, exec, s[0:1]
	v_subrev_u32_e32 v16, s37, v3
	v_mbcnt_lo_u32_b32 v3, -1, 0
	v_mbcnt_hi_u32_b32 v3, -1, v3
	v_min_i32_e32 v8, v2, v4
	v_and_b32_e32 v4, 64, v3
	v_add_u32_e32 v4, 64, v4
	v_xor_b32_e32 v9, 32, v3
	v_cmp_lt_i32_e32 vcc, v9, v4
	v_cndmask_b32_e32 v9, v3, v9, vcc
	v_lshlrev_b32_e32 v20, 2, v9
	v_xor_b32_e32 v9, 16, v3
	v_cmp_lt_i32_e32 vcc, v9, v4
	v_cndmask_b32_e32 v9, v3, v9, vcc
	v_lshlrev_b32_e32 v21, 2, v9
	v_xor_b32_e32 v9, 8, v3
	v_cmp_lt_i32_e32 vcc, v9, v4
	v_cndmask_b32_e32 v9, v3, v9, vcc
	v_lshlrev_b32_e32 v22, 2, v9
	v_xor_b32_e32 v9, 4, v3
	v_cmp_lt_i32_e32 vcc, v9, v4
	v_cndmask_b32_e32 v9, v3, v9, vcc
	v_lshlrev_b32_e32 v23, 2, v9
	v_xor_b32_e32 v9, 2, v3
	v_cmp_lt_i32_e32 vcc, v9, v4
	v_cndmask_b32_e32 v9, v3, v9, vcc
	v_lshlrev_b32_e32 v24, 2, v9
	v_xor_b32_e32 v9, 1, v3
	v_and_b32_e32 v7, 0xc0, v0
	s_waitcnt vmcnt(0)
	v_subrev_u32_e32 v17, s38, v1
	v_and_b32_e32 v1, 63, v0
	v_cmp_lt_i32_e32 vcc, v9, v4
	v_or_b32_e32 v13, 0x800, v7
	v_lshlrev_b32_e32 v14, 3, v7
	v_subrev_u32_e32 v15, s36, v5
	v_add_u32_e32 v0, v6, v1
	v_mov_b32_e32 v5, 0
	v_xor_b32_e32 v6, 63, v1
	v_cndmask_b32_e32 v3, v3, v9, vcc
	v_add_u32_e32 v2, v10, v1
	v_lshl_or_b32 v18, v1, 3, v14
	s_xor_b32 s6, s5, 0x80000000
	s_xor_b32 s12, s21, 0x80000000
	v_lshrrev_b64 v[6:7], v6, -1
	v_add_u32_e32 v19, s38, v1
	v_lshlrev_b32_e32 v25, 2, v3
	s_mov_b32 s7, s4
	s_mov_b32 s13, s20
	s_mov_b64 s[16:17], 0
	v_add_u32_e32 v26, v13, v1
	v_mov_b32_e32 v10, v5
	v_mov_b32_e32 v11, v5
	;; [unrolled: 1-line block ×3, first 2 shown]
	s_branch .LBB13_19
.LBB13_18:                              ;   in Loop: Header=BB13_19 Depth=1
	s_or_b64 exec, exec, s[22:23]
	ds_bpermute_b32 v1, v20, v9
	s_bcnt1_i32_b64 s0, vcc
	v_add_u32_e32 v17, s0, v17
	s_waitcnt lgkmcnt(0)
	v_min_i32_e32 v1, v1, v9
	ds_bpermute_b32 v3, v21, v1
	s_waitcnt lgkmcnt(0)
	v_min_i32_e32 v1, v3, v1
	ds_bpermute_b32 v3, v22, v1
	;; [unrolled: 3-line block ×5, first 2 shown]
	s_waitcnt lgkmcnt(0)
	v_min_i32_e32 v8, v3, v1
	v_ashrrev_i32_e32 v9, 31, v8
	v_cmp_le_i64_e32 vcc, s[18:19], v[8:9]
	s_or_b64 s[16:17], vcc, s[16:17]
	s_andn2_b64 exec, exec, s[16:17]
	s_cbranch_execz .LBB13_41
.LBB13_19:                              ; =>This Loop Header: Depth=1
                                        ;     Child Loop BB13_22 Depth 2
                                        ;     Child Loop BB13_32 Depth 2
	v_cmp_lt_i32_e32 vcc, v0, v15
	v_mov_b32_e32 v9, v12
	ds_write_b8 v26, v5
	ds_write_b64 v18, v[10:11]
	s_waitcnt lgkmcnt(0)
	s_and_saveexec_b64 s[22:23], vcc
	s_cbranch_execz .LBB13_29
; %bb.20:                               ;   in Loop: Header=BB13_19 Depth=1
	s_mov_b64 s[28:29], 0
	v_mov_b32_e32 v9, v12
	s_branch .LBB13_22
.LBB13_21:                              ;   in Loop: Header=BB13_22 Depth=2
	s_or_b64 exec, exec, s[30:31]
	s_and_b64 s[0:1], exec, s[0:1]
	s_or_b64 s[28:29], s[0:1], s[28:29]
	s_andn2_b64 exec, exec, s[28:29]
	s_cbranch_execz .LBB13_28
.LBB13_22:                              ;   Parent Loop BB13_19 Depth=1
                                        ; =>  This Inner Loop Header: Depth=2
	v_ashrrev_i32_e32 v1, 31, v0
	v_lshlrev_b64 v[28:29], 2, v[0:1]
	v_mov_b32_e32 v3, s25
	v_add_co_u32_e32 v28, vcc, s24, v28
	v_addc_co_u32_e32 v29, vcc, v3, v29, vcc
	global_load_dword v3, v[28:29], off
	s_waitcnt vmcnt(0)
	v_subrev_u32_e32 v4, s36, v3
	v_sub_u32_e32 v3, v4, v8
	v_cmp_gt_u32_e32 vcc, 64, v3
	v_cmp_lt_u32_e64 s[0:1], 63, v3
	s_and_saveexec_b64 s[30:31], s[0:1]
	s_xor_b64 s[0:1], exec, s[30:31]
	s_cbranch_execnz .LBB13_25
; %bb.23:                               ;   in Loop: Header=BB13_22 Depth=2
	s_andn2_saveexec_b64 s[30:31], s[0:1]
	s_cbranch_execnz .LBB13_26
.LBB13_24:                              ;   in Loop: Header=BB13_22 Depth=2
	s_or_b64 exec, exec, s[30:31]
	s_mov_b64 s[0:1], -1
	s_and_saveexec_b64 s[30:31], vcc
	s_cbranch_execz .LBB13_21
	s_branch .LBB13_27
.LBB13_25:                              ;   in Loop: Header=BB13_22 Depth=2
	v_min_i32_e32 v9, v4, v9
                                        ; implicit-def: $vgpr3
	s_andn2_saveexec_b64 s[30:31], s[0:1]
	s_cbranch_execz .LBB13_24
.LBB13_26:                              ;   in Loop: Header=BB13_22 Depth=2
	v_lshlrev_b64 v[28:29], 3, v[0:1]
	v_mov_b32_e32 v1, s27
	v_add_co_u32_e64 v28, s[0:1], s26, v28
	v_addc_co_u32_e64 v29, s[0:1], v1, v29, s[0:1]
	global_load_dwordx2 v[28:29], v[28:29], off
	v_add_u32_e32 v1, v13, v3
	ds_write_b8 v1, v27
	v_lshl_add_u32 v1, v3, 3, v14
	s_waitcnt vmcnt(0)
	v_pk_mul_f32 v[30:31], v[28:29], s[6:7] op_sel:[1,0]
	v_pk_fma_f32 v[28:29], s[4:5], v[28:29], v[30:31] op_sel_hi:[1,0,1]
	ds_write_b64 v1, v[28:29]
	s_or_b64 exec, exec, s[30:31]
	s_mov_b64 s[0:1], -1
	s_and_saveexec_b64 s[30:31], vcc
	s_cbranch_execz .LBB13_21
.LBB13_27:                              ;   in Loop: Header=BB13_22 Depth=2
	v_add_u32_e32 v0, 64, v0
	v_cmp_ge_i32_e32 vcc, v0, v15
	s_orn2_b64 s[0:1], vcc, exec
	s_branch .LBB13_21
.LBB13_28:                              ;   in Loop: Header=BB13_19 Depth=1
	s_or_b64 exec, exec, s[28:29]
.LBB13_29:                              ;   in Loop: Header=BB13_19 Depth=1
	s_or_b64 exec, exec, s[22:23]
	v_cmp_lt_i32_e32 vcc, v2, v16
	s_waitcnt lgkmcnt(0)
	s_and_saveexec_b64 s[22:23], vcc
	s_cbranch_execz .LBB13_39
; %bb.30:                               ;   in Loop: Header=BB13_19 Depth=1
	s_mov_b64 s[28:29], 0
	s_branch .LBB13_32
.LBB13_31:                              ;   in Loop: Header=BB13_32 Depth=2
	s_or_b64 exec, exec, s[30:31]
	s_and_b64 s[0:1], exec, s[0:1]
	s_or_b64 s[28:29], s[0:1], s[28:29]
	s_andn2_b64 exec, exec, s[28:29]
	s_cbranch_execz .LBB13_38
.LBB13_32:                              ;   Parent Loop BB13_19 Depth=1
                                        ; =>  This Inner Loop Header: Depth=2
	v_ashrrev_i32_e32 v3, 31, v2
	v_lshlrev_b64 v[28:29], 2, v[2:3]
	v_mov_b32_e32 v1, s9
	v_add_co_u32_e32 v28, vcc, s8, v28
	v_addc_co_u32_e32 v29, vcc, v1, v29, vcc
	global_load_dword v1, v[28:29], off
	s_waitcnt vmcnt(0)
	v_subrev_u32_e32 v4, s37, v1
	v_sub_u32_e32 v1, v4, v8
	v_cmp_gt_u32_e32 vcc, 64, v1
	v_cmp_lt_u32_e64 s[0:1], 63, v1
	s_and_saveexec_b64 s[30:31], s[0:1]
	s_xor_b64 s[0:1], exec, s[30:31]
	s_cbranch_execnz .LBB13_35
; %bb.33:                               ;   in Loop: Header=BB13_32 Depth=2
	s_andn2_saveexec_b64 s[30:31], s[0:1]
	s_cbranch_execnz .LBB13_36
.LBB13_34:                              ;   in Loop: Header=BB13_32 Depth=2
	s_or_b64 exec, exec, s[30:31]
	s_mov_b64 s[0:1], -1
	s_and_saveexec_b64 s[30:31], vcc
	s_cbranch_execz .LBB13_31
	s_branch .LBB13_37
.LBB13_35:                              ;   in Loop: Header=BB13_32 Depth=2
	v_min_i32_e32 v9, v4, v9
                                        ; implicit-def: $vgpr1
	s_andn2_saveexec_b64 s[30:31], s[0:1]
	s_cbranch_execz .LBB13_34
.LBB13_36:                              ;   in Loop: Header=BB13_32 Depth=2
	v_lshlrev_b64 v[28:29], 3, v[2:3]
	v_mov_b32_e32 v3, s11
	v_add_co_u32_e64 v28, s[0:1], s10, v28
	v_addc_co_u32_e64 v29, s[0:1], v3, v29, s[0:1]
	global_load_dwordx2 v[28:29], v[28:29], off
	v_lshl_add_u32 v3, v1, 3, v14
	ds_read_b64 v[30:31], v3
	v_add_u32_e32 v1, v13, v1
	ds_write_b8 v1, v27
	s_waitcnt vmcnt(0) lgkmcnt(1)
	v_pk_fma_f32 v[30:31], s[20:21], v[28:29], v[30:31] op_sel_hi:[1,0,1]
	v_pk_fma_f32 v[28:29], s[12:13], v[28:29], v[30:31] op_sel:[0,1,0]
	ds_write_b64 v3, v[28:29]
	s_or_b64 exec, exec, s[30:31]
	s_mov_b64 s[0:1], -1
	s_and_saveexec_b64 s[30:31], vcc
	s_cbranch_execz .LBB13_31
.LBB13_37:                              ;   in Loop: Header=BB13_32 Depth=2
	v_add_u32_e32 v2, 64, v2
	v_cmp_ge_i32_e32 vcc, v2, v16
	s_orn2_b64 s[0:1], vcc, exec
	s_branch .LBB13_31
.LBB13_38:                              ;   in Loop: Header=BB13_19 Depth=1
	s_or_b64 exec, exec, s[28:29]
.LBB13_39:                              ;   in Loop: Header=BB13_19 Depth=1
	s_or_b64 exec, exec, s[22:23]
	s_waitcnt lgkmcnt(0)
	ds_read_u8 v1, v26
	s_waitcnt lgkmcnt(0)
	v_and_b32_e32 v3, 1, v1
	v_cmp_eq_u32_e64 s[0:1], 1, v3
	v_cmp_ne_u16_e32 vcc, 0, v1
	s_and_saveexec_b64 s[22:23], s[0:1]
	s_cbranch_execz .LBB13_18
; %bb.40:                               ;   in Loop: Header=BB13_19 Depth=1
	v_and_b32_e32 v3, vcc_lo, v6
	v_and_b32_e32 v1, vcc_hi, v7
	v_bcnt_u32_b32 v3, v3, 0
	v_bcnt_u32_b32 v1, v1, v3
	v_add3_u32 v4, v17, v1, -1
	v_lshlrev_b64 v[28:29], 2, v[4:5]
	v_mov_b32_e32 v1, s15
	v_add_co_u32_e64 v28, s[0:1], s14, v28
	ds_read_b64 v[30:31], v18
	v_add_u32_e32 v3, v19, v8
	v_addc_co_u32_e64 v29, s[0:1], v1, v29, s[0:1]
	global_store_dword v[28:29], v3, off
	v_lshlrev_b64 v[28:29], 3, v[4:5]
	v_mov_b32_e32 v1, s3
	v_add_co_u32_e64 v28, s[0:1], s2, v28
	v_addc_co_u32_e64 v29, s[0:1], v1, v29, s[0:1]
	s_waitcnt lgkmcnt(0)
	global_store_dwordx2 v[28:29], v[30:31], off
	s_branch .LBB13_18
.LBB13_41:
	s_endpgm
	.section	.rodata,"a",@progbits
	.p2align	6, 0x0
	.amdhsa_kernel _ZN9rocsparseL29csrgeam_fill_multipass_kernelILj256ELj64Eii21rocsparse_complex_numIfEEEvllNS_24const_host_device_scalarIT3_EEPKT1_PKT2_PKS4_S5_S8_SB_SD_S8_PS9_PS4_21rocsparse_index_base_SG_SG_bbb
		.amdhsa_group_segment_fixed_size 2304
		.amdhsa_private_segment_fixed_size 0
		.amdhsa_kernarg_size 120
		.amdhsa_user_sgpr_count 6
		.amdhsa_user_sgpr_private_segment_buffer 1
		.amdhsa_user_sgpr_dispatch_ptr 0
		.amdhsa_user_sgpr_queue_ptr 0
		.amdhsa_user_sgpr_kernarg_segment_ptr 1
		.amdhsa_user_sgpr_dispatch_id 0
		.amdhsa_user_sgpr_flat_scratch_init 0
		.amdhsa_user_sgpr_kernarg_preload_length 0
		.amdhsa_user_sgpr_kernarg_preload_offset 0
		.amdhsa_user_sgpr_private_segment_size 0
		.amdhsa_uses_dynamic_stack 0
		.amdhsa_system_sgpr_private_segment_wavefront_offset 0
		.amdhsa_system_sgpr_workgroup_id_x 1
		.amdhsa_system_sgpr_workgroup_id_y 0
		.amdhsa_system_sgpr_workgroup_id_z 0
		.amdhsa_system_sgpr_workgroup_info 0
		.amdhsa_system_vgpr_workitem_id 0
		.amdhsa_next_free_vgpr 32
		.amdhsa_next_free_sgpr 40
		.amdhsa_accum_offset 32
		.amdhsa_reserve_vcc 1
		.amdhsa_reserve_flat_scratch 0
		.amdhsa_float_round_mode_32 0
		.amdhsa_float_round_mode_16_64 0
		.amdhsa_float_denorm_mode_32 3
		.amdhsa_float_denorm_mode_16_64 3
		.amdhsa_dx10_clamp 1
		.amdhsa_ieee_mode 1
		.amdhsa_fp16_overflow 0
		.amdhsa_tg_split 0
		.amdhsa_exception_fp_ieee_invalid_op 0
		.amdhsa_exception_fp_denorm_src 0
		.amdhsa_exception_fp_ieee_div_zero 0
		.amdhsa_exception_fp_ieee_overflow 0
		.amdhsa_exception_fp_ieee_underflow 0
		.amdhsa_exception_fp_ieee_inexact 0
		.amdhsa_exception_int_div_zero 0
	.end_amdhsa_kernel
	.section	.text._ZN9rocsparseL29csrgeam_fill_multipass_kernelILj256ELj64Eii21rocsparse_complex_numIfEEEvllNS_24const_host_device_scalarIT3_EEPKT1_PKT2_PKS4_S5_S8_SB_SD_S8_PS9_PS4_21rocsparse_index_base_SG_SG_bbb,"axG",@progbits,_ZN9rocsparseL29csrgeam_fill_multipass_kernelILj256ELj64Eii21rocsparse_complex_numIfEEEvllNS_24const_host_device_scalarIT3_EEPKT1_PKT2_PKS4_S5_S8_SB_SD_S8_PS9_PS4_21rocsparse_index_base_SG_SG_bbb,comdat
.Lfunc_end13:
	.size	_ZN9rocsparseL29csrgeam_fill_multipass_kernelILj256ELj64Eii21rocsparse_complex_numIfEEEvllNS_24const_host_device_scalarIT3_EEPKT1_PKT2_PKS4_S5_S8_SB_SD_S8_PS9_PS4_21rocsparse_index_base_SG_SG_bbb, .Lfunc_end13-_ZN9rocsparseL29csrgeam_fill_multipass_kernelILj256ELj64Eii21rocsparse_complex_numIfEEEvllNS_24const_host_device_scalarIT3_EEPKT1_PKT2_PKS4_S5_S8_SB_SD_S8_PS9_PS4_21rocsparse_index_base_SG_SG_bbb
                                        ; -- End function
	.section	.AMDGPU.csdata,"",@progbits
; Kernel info:
; codeLenInByte = 1568
; NumSgprs: 44
; NumVgprs: 32
; NumAgprs: 0
; TotalNumVgprs: 32
; ScratchSize: 0
; MemoryBound: 0
; FloatMode: 240
; IeeeMode: 1
; LDSByteSize: 2304 bytes/workgroup (compile time only)
; SGPRBlocks: 5
; VGPRBlocks: 3
; NumSGPRsForWavesPerEU: 44
; NumVGPRsForWavesPerEU: 32
; AccumOffset: 32
; Occupancy: 8
; WaveLimiterHint : 1
; COMPUTE_PGM_RSRC2:SCRATCH_EN: 0
; COMPUTE_PGM_RSRC2:USER_SGPR: 6
; COMPUTE_PGM_RSRC2:TRAP_HANDLER: 0
; COMPUTE_PGM_RSRC2:TGID_X_EN: 1
; COMPUTE_PGM_RSRC2:TGID_Y_EN: 0
; COMPUTE_PGM_RSRC2:TGID_Z_EN: 0
; COMPUTE_PGM_RSRC2:TIDIG_COMP_CNT: 0
; COMPUTE_PGM_RSRC3_GFX90A:ACCUM_OFFSET: 7
; COMPUTE_PGM_RSRC3_GFX90A:TG_SPLIT: 0
	.section	.text._ZN9rocsparseL29csrgeam_fill_multipass_kernelILj256ELj32Eli21rocsparse_complex_numIfEEEvllNS_24const_host_device_scalarIT3_EEPKT1_PKT2_PKS4_S5_S8_SB_SD_S8_PS9_PS4_21rocsparse_index_base_SG_SG_bbb,"axG",@progbits,_ZN9rocsparseL29csrgeam_fill_multipass_kernelILj256ELj32Eli21rocsparse_complex_numIfEEEvllNS_24const_host_device_scalarIT3_EEPKT1_PKT2_PKS4_S5_S8_SB_SD_S8_PS9_PS4_21rocsparse_index_base_SG_SG_bbb,comdat
	.globl	_ZN9rocsparseL29csrgeam_fill_multipass_kernelILj256ELj32Eli21rocsparse_complex_numIfEEEvllNS_24const_host_device_scalarIT3_EEPKT1_PKT2_PKS4_S5_S8_SB_SD_S8_PS9_PS4_21rocsparse_index_base_SG_SG_bbb ; -- Begin function _ZN9rocsparseL29csrgeam_fill_multipass_kernelILj256ELj32Eli21rocsparse_complex_numIfEEEvllNS_24const_host_device_scalarIT3_EEPKT1_PKT2_PKS4_S5_S8_SB_SD_S8_PS9_PS4_21rocsparse_index_base_SG_SG_bbb
	.p2align	8
	.type	_ZN9rocsparseL29csrgeam_fill_multipass_kernelILj256ELj32Eli21rocsparse_complex_numIfEEEvllNS_24const_host_device_scalarIT3_EEPKT1_PKT2_PKS4_S5_S8_SB_SD_S8_PS9_PS4_21rocsparse_index_base_SG_SG_bbb,@function
_ZN9rocsparseL29csrgeam_fill_multipass_kernelILj256ELj32Eli21rocsparse_complex_numIfEEEvllNS_24const_host_device_scalarIT3_EEPKT1_PKT2_PKS4_S5_S8_SB_SD_S8_PS9_PS4_21rocsparse_index_base_SG_SG_bbb: ; @_ZN9rocsparseL29csrgeam_fill_multipass_kernelILj256ELj32Eli21rocsparse_complex_numIfEEEvllNS_24const_host_device_scalarIT3_EEPKT1_PKT2_PKS4_S5_S8_SB_SD_S8_PS9_PS4_21rocsparse_index_base_SG_SG_bbb
; %bb.0:
	s_load_dwordx8 s[8:15], s[4:5], 0x40
	s_load_dword s7, s[4:5], 0x74
	s_load_dwordx8 s[16:23], s[4:5], 0x0
	s_load_dwordx8 s[24:31], s[4:5], 0x20
	s_load_dwordx2 s[34:35], s[4:5], 0x60
	s_load_dwordx4 s[36:39], s[4:5], 0x68
	s_waitcnt lgkmcnt(0)
	s_bitcmp1_b32 s7, 16
	s_cselect_b64 s[0:1], -1, 0
	s_xor_b64 s[0:1], s[0:1], -1
	s_mov_b32 s3, 0
	v_cndmask_b32_e64 v1, 0, 1, s[0:1]
	s_bitcmp0_b32 s39, 0
	v_cmp_ne_u32_e64 s[0:1], 1, v1
	s_mov_b32 s2, s3
	s_cbranch_scc1 .LBB14_6
; %bb.1:
	s_and_b64 vcc, exec, s[0:1]
	s_mov_b32 s2, s20
	s_cbranch_vccnz .LBB14_3
; %bb.2:
	s_load_dword s2, s[20:21], 0x0
.LBB14_3:
	s_and_b64 vcc, exec, s[0:1]
	s_cbranch_vccnz .LBB14_5
; %bb.4:
	s_load_dword s21, s[20:21], 0x4
.LBB14_5:
	s_waitcnt lgkmcnt(0)
	s_mov_b32 s3, s21
.LBB14_6:
	s_mov_b32 s5, 0
	s_bfe_u32 s4, s7, 0x10008
	s_cmp_eq_u32 s4, 0
	s_mov_b32 s4, s5
	s_cbranch_scc1 .LBB14_12
; %bb.7:
	s_and_b64 vcc, exec, s[0:1]
	s_mov_b32 s4, s28
	s_cbranch_vccnz .LBB14_9
; %bb.8:
	s_load_dword s4, s[28:29], 0x0
.LBB14_9:
	s_and_b64 vcc, exec, s[0:1]
	s_cbranch_vccnz .LBB14_11
; %bb.10:
	s_load_dword s29, s[28:29], 0x4
.LBB14_11:
	s_waitcnt lgkmcnt(0)
	s_mov_b32 s5, s29
.LBB14_12:
	s_lshl_b32 s0, s6, 3
	v_lshrrev_b32_e32 v1, 5, v0
	s_and_b32 s0, s0, 0x7fffff8
	v_or_b32_e32 v2, s0, v1
	v_mov_b32_e32 v3, 0
	v_cmp_gt_i64_e32 vcc, s[16:17], v[2:3]
	s_and_saveexec_b64 s[0:1], vcc
	s_cbranch_execz .LBB14_41
; %bb.13:
	v_lshlrev_b32_e32 v1, 3, v2
	global_load_dwordx4 v[2:5], v1, s[22:23]
	global_load_dwordx4 v[6:9], v1, s[30:31]
	global_load_dwordx2 v[12:13], v1, s[12:13]
	s_mov_b32 s7, 0
	s_mov_b32 s6, s36
	s_waitcnt vmcnt(2)
	v_subrev_co_u32_e32 v10, vcc, s36, v2
	v_subbrev_co_u32_e32 v11, vcc, 0, v3, vcc
	v_cmp_ge_i64_e32 vcc, v[2:3], v[4:5]
	s_and_saveexec_b64 s[0:1], vcc
	s_xor_b64 s[0:1], exec, s[0:1]
	s_or_saveexec_b64 s[0:1], s[0:1]
	v_mov_b32_e32 v14, s18
	s_xor_b64 exec, exec, s[0:1]
	s_cbranch_execz .LBB14_15
; %bb.14:
	v_lshlrev_b64 v[2:3], 2, v[10:11]
	v_mov_b32_e32 v1, s25
	v_add_co_u32_e32 v2, vcc, s24, v2
	v_addc_co_u32_e32 v3, vcc, v1, v3, vcc
	global_load_dword v1, v[2:3], off
	s_waitcnt vmcnt(0)
	v_subrev_u32_e32 v14, s36, v1
.LBB14_15:
	s_or_b64 exec, exec, s[0:1]
	s_waitcnt vmcnt(1)
	v_subrev_co_u32_e32 v16, vcc, s37, v6
	v_subbrev_co_u32_e32 v17, vcc, 0, v7, vcc
	s_mov_b32 s12, 0
	s_mov_b32 s13, s37
	v_cmp_ge_i64_e32 vcc, v[6:7], v[8:9]
	s_and_saveexec_b64 s[0:1], vcc
	s_xor_b64 s[0:1], exec, s[0:1]
	s_or_saveexec_b64 s[0:1], s[0:1]
	v_mov_b32_e32 v7, s18
	v_mov_b32_e32 v15, s18
	s_xor_b64 exec, exec, s[0:1]
	s_cbranch_execz .LBB14_17
; %bb.16:
	v_lshlrev_b64 v[2:3], 2, v[16:17]
	v_mov_b32_e32 v1, s9
	v_add_co_u32_e32 v2, vcc, s8, v2
	v_addc_co_u32_e32 v3, vcc, v1, v3, vcc
	global_load_dword v1, v[2:3], off
	v_mov_b32_e32 v7, s18
	s_waitcnt vmcnt(0)
	v_subrev_u32_e32 v15, s37, v1
.LBB14_17:
	s_or_b64 exec, exec, s[0:1]
	v_and_b32_e32 v1, 0xe0, v0
	v_or_b32_e32 v20, 0x800, v1
	v_lshlrev_b32_e32 v21, 3, v1
	v_mov_b32_e32 v1, s7
	v_subrev_co_u32_e32 v2, vcc, s6, v4
	v_subb_co_u32_e32 v3, vcc, v5, v1, vcc
	v_mov_b32_e32 v1, s12
	v_subrev_co_u32_e32 v4, vcc, s13, v8
	v_subb_co_u32_e32 v5, vcc, v9, v1, vcc
	s_waitcnt vmcnt(0)
	v_subrev_co_u32_e32 v6, vcc, s38, v12
	v_subbrev_co_u32_e32 v1, vcc, 0, v13, vcc
	v_and_b32_e32 v9, 31, v0
	v_add_co_u32_e32 v10, vcc, v10, v9
	v_min_i32_e32 v14, v15, v14
	v_addc_co_u32_e32 v11, vcc, 0, v11, vcc
	v_mbcnt_lo_u32_b32 v15, -1, 0
	v_add_co_u32_e32 v12, vcc, v16, v9
	v_mbcnt_hi_u32_b32 v15, -1, v15
	v_addc_co_u32_e32 v13, vcc, 0, v17, vcc
	v_and_b32_e32 v16, 64, v15
	v_xor_b32_e32 v17, 31, v9
	v_add_u32_e32 v16, 64, v16
	v_lshrrev_b32_e64 v22, v17, -1
	v_xor_b32_e32 v17, 16, v15
	v_cmp_lt_i32_e32 vcc, v17, v16
	v_cndmask_b32_e32 v17, v15, v17, vcc
	v_lshlrev_b32_e32 v24, 2, v17
	v_xor_b32_e32 v17, 8, v15
	v_cmp_lt_i32_e32 vcc, v17, v16
	v_cndmask_b32_e32 v17, v15, v17, vcc
	v_lshlrev_b32_e32 v25, 2, v17
	v_xor_b32_e32 v17, 4, v15
	s_xor_b32 s6, s3, 0x80000000
	s_xor_b32 s12, s5, 0x80000000
	v_cmp_lt_i32_e32 vcc, v17, v16
	v_cndmask_b32_e32 v17, v15, v17, vcc
	s_add_u32 s22, s14, -4
	v_lshlrev_b32_e32 v26, 2, v17
	v_xor_b32_e32 v17, 2, v15
	s_addc_u32 s23, s15, -1
	v_cmp_lt_i32_e32 vcc, v17, v16
	s_add_u32 s28, s34, -8
	v_cndmask_b32_e32 v17, v15, v17, vcc
	s_addc_u32 s29, s35, -1
	v_lshlrev_b32_e32 v27, 2, v17
	v_xor_b32_e32 v17, 1, v15
	s_add_u32 s26, s26, 4
	v_cmp_lt_i32_e32 vcc, v17, v16
	s_addc_u32 s27, s27, 0
	v_mov_b32_e32 v8, 0
	v_cndmask_b32_e32 v15, v15, v17, vcc
	s_add_u32 s30, s10, 4
	v_lshl_or_b32 v0, v9, 3, v21
	v_add_u32_e32 v23, s38, v9
	v_lshlrev_b32_e32 v28, 2, v15
	s_mov_b32 s7, s2
	s_mov_b32 s13, s4
	s_addc_u32 s31, s11, 0
	s_mov_b64 s[10:11], 0
	v_add_u32_e32 v29, v20, v9
	v_mov_b32_e32 v9, v8
	v_mov_b32_e32 v30, 1
	s_branch .LBB14_19
.LBB14_18:                              ;   in Loop: Header=BB14_19 Depth=1
	s_or_b64 exec, exec, s[14:15]
	ds_bpermute_b32 v14, v24, v15
	s_bcnt1_i32_b64 s0, vcc
	s_waitcnt lgkmcnt(0)
	v_min_i32_e32 v14, v14, v15
	ds_bpermute_b32 v15, v25, v14
	s_waitcnt lgkmcnt(0)
	v_min_i32_e32 v14, v15, v14
	ds_bpermute_b32 v15, v26, v14
	s_waitcnt lgkmcnt(0)
	v_min_i32_e32 v14, v15, v14
	ds_bpermute_b32 v15, v27, v14
	s_waitcnt lgkmcnt(0)
	v_min_i32_e32 v14, v15, v14
	ds_bpermute_b32 v15, v28, v14
	s_waitcnt lgkmcnt(0)
	v_min_i32_e32 v14, v15, v14
	v_ashrrev_i32_e32 v15, 31, v14
	v_cmp_le_i64_e32 vcc, s[18:19], v[14:15]
	s_or_b64 s[10:11], vcc, s[10:11]
	v_add_co_u32_e32 v6, vcc, s0, v6
	v_addc_co_u32_e32 v1, vcc, 0, v1, vcc
	s_andn2_b64 exec, exec, s[10:11]
	s_cbranch_execz .LBB14_41
.LBB14_19:                              ; =>This Loop Header: Depth=1
                                        ;     Child Loop BB14_22 Depth 2
                                        ;     Child Loop BB14_32 Depth 2
	v_cmp_lt_i64_e32 vcc, v[10:11], v[2:3]
	v_mov_b32_e32 v15, v7
	ds_write_b8 v29, v8
	ds_write_b64 v0, v[8:9]
	s_waitcnt lgkmcnt(0)
	s_and_saveexec_b64 s[14:15], vcc
	s_cbranch_execz .LBB14_29
; %bb.20:                               ;   in Loop: Header=BB14_19 Depth=1
	v_lshlrev_b64 v[16:17], 2, v[10:11]
	v_mov_b32_e32 v15, s25
	v_add_co_u32_e32 v16, vcc, s24, v16
	v_addc_co_u32_e32 v17, vcc, v15, v17, vcc
	v_lshlrev_b64 v[18:19], 3, v[10:11]
	v_mov_b32_e32 v15, s27
	v_add_co_u32_e32 v18, vcc, s26, v18
	v_addc_co_u32_e32 v19, vcc, v15, v19, vcc
	s_mov_b64 s[16:17], 0
	v_mov_b32_e32 v15, v7
	s_branch .LBB14_22
.LBB14_21:                              ;   in Loop: Header=BB14_22 Depth=2
	s_or_b64 exec, exec, s[0:1]
	s_and_b64 s[0:1], exec, s[20:21]
	s_or_b64 s[16:17], s[0:1], s[16:17]
	s_andn2_b64 exec, exec, s[16:17]
	s_cbranch_execz .LBB14_28
.LBB14_22:                              ;   Parent Loop BB14_19 Depth=1
                                        ; =>  This Inner Loop Header: Depth=2
	global_load_dword v31, v[16:17], off
	s_waitcnt vmcnt(0)
	v_subrev_u32_e32 v32, s36, v31
	v_sub_u32_e32 v31, v32, v14
	v_cmp_gt_u32_e32 vcc, 32, v31
	v_cmp_lt_u32_e64 s[0:1], 31, v31
	s_and_saveexec_b64 s[20:21], s[0:1]
	s_xor_b64 s[0:1], exec, s[20:21]
	s_cbranch_execnz .LBB14_25
; %bb.23:                               ;   in Loop: Header=BB14_22 Depth=2
	s_andn2_saveexec_b64 s[0:1], s[0:1]
	s_cbranch_execnz .LBB14_26
.LBB14_24:                              ;   in Loop: Header=BB14_22 Depth=2
	s_or_b64 exec, exec, s[0:1]
	s_mov_b64 s[20:21], -1
	s_and_saveexec_b64 s[0:1], vcc
	s_cbranch_execz .LBB14_21
	s_branch .LBB14_27
.LBB14_25:                              ;   in Loop: Header=BB14_22 Depth=2
	v_min_i32_e32 v15, v32, v15
                                        ; implicit-def: $vgpr31
	s_andn2_saveexec_b64 s[0:1], s[0:1]
	s_cbranch_execz .LBB14_24
.LBB14_26:                              ;   in Loop: Header=BB14_22 Depth=2
	global_load_dwordx2 v[32:33], v[18:19], off offset:-4
	v_add_u32_e32 v34, v20, v31
	ds_write_b8 v34, v30
	v_lshl_add_u32 v31, v31, 3, v21
	s_waitcnt vmcnt(0)
	v_pk_mul_f32 v[34:35], v[32:33], s[6:7] op_sel:[1,0]
	v_pk_fma_f32 v[32:33], s[2:3], v[32:33], v[34:35] op_sel_hi:[1,0,1]
	ds_write_b64 v31, v[32:33]
	s_or_b64 exec, exec, s[0:1]
	s_mov_b64 s[20:21], -1
	s_and_saveexec_b64 s[0:1], vcc
	s_cbranch_execz .LBB14_21
.LBB14_27:                              ;   in Loop: Header=BB14_22 Depth=2
	v_add_co_u32_e32 v10, vcc, 32, v10
	v_addc_co_u32_e32 v11, vcc, 0, v11, vcc
	v_add_co_u32_e32 v16, vcc, 0x80, v16
	v_addc_co_u32_e32 v17, vcc, 0, v17, vcc
	;; [unrolled: 2-line block ×3, first 2 shown]
	v_cmp_ge_i64_e32 vcc, v[10:11], v[2:3]
	s_orn2_b64 s[20:21], vcc, exec
	s_branch .LBB14_21
.LBB14_28:                              ;   in Loop: Header=BB14_19 Depth=1
	s_or_b64 exec, exec, s[16:17]
.LBB14_29:                              ;   in Loop: Header=BB14_19 Depth=1
	s_or_b64 exec, exec, s[14:15]
	v_cmp_lt_i64_e32 vcc, v[12:13], v[4:5]
	s_waitcnt lgkmcnt(0)
	s_and_saveexec_b64 s[14:15], vcc
	s_cbranch_execz .LBB14_39
; %bb.30:                               ;   in Loop: Header=BB14_19 Depth=1
	v_lshlrev_b64 v[16:17], 2, v[12:13]
	v_mov_b32_e32 v18, s9
	v_add_co_u32_e32 v16, vcc, s8, v16
	v_addc_co_u32_e32 v17, vcc, v18, v17, vcc
	v_lshlrev_b64 v[18:19], 3, v[12:13]
	v_mov_b32_e32 v31, s31
	v_add_co_u32_e32 v18, vcc, s30, v18
	v_addc_co_u32_e32 v19, vcc, v31, v19, vcc
	s_mov_b64 s[16:17], 0
	s_branch .LBB14_32
.LBB14_31:                              ;   in Loop: Header=BB14_32 Depth=2
	s_or_b64 exec, exec, s[0:1]
	s_and_b64 s[0:1], exec, s[20:21]
	s_or_b64 s[16:17], s[0:1], s[16:17]
	s_andn2_b64 exec, exec, s[16:17]
	s_cbranch_execz .LBB14_38
.LBB14_32:                              ;   Parent Loop BB14_19 Depth=1
                                        ; =>  This Inner Loop Header: Depth=2
	global_load_dword v31, v[16:17], off
	s_waitcnt vmcnt(0)
	v_subrev_u32_e32 v32, s37, v31
	v_sub_u32_e32 v31, v32, v14
	v_cmp_gt_u32_e32 vcc, 32, v31
	v_cmp_lt_u32_e64 s[0:1], 31, v31
	s_and_saveexec_b64 s[20:21], s[0:1]
	s_xor_b64 s[0:1], exec, s[20:21]
	s_cbranch_execnz .LBB14_35
; %bb.33:                               ;   in Loop: Header=BB14_32 Depth=2
	s_andn2_saveexec_b64 s[0:1], s[0:1]
	s_cbranch_execnz .LBB14_36
.LBB14_34:                              ;   in Loop: Header=BB14_32 Depth=2
	s_or_b64 exec, exec, s[0:1]
	s_mov_b64 s[20:21], -1
	s_and_saveexec_b64 s[0:1], vcc
	s_cbranch_execz .LBB14_31
	s_branch .LBB14_37
.LBB14_35:                              ;   in Loop: Header=BB14_32 Depth=2
	v_min_i32_e32 v15, v32, v15
                                        ; implicit-def: $vgpr31
	s_andn2_saveexec_b64 s[0:1], s[0:1]
	s_cbranch_execz .LBB14_34
.LBB14_36:                              ;   in Loop: Header=BB14_32 Depth=2
	global_load_dwordx2 v[32:33], v[18:19], off offset:-4
	v_lshl_add_u32 v36, v31, 3, v21
	ds_read_b64 v[34:35], v36
	v_add_u32_e32 v31, v20, v31
	ds_write_b8 v31, v30
	s_waitcnt vmcnt(0) lgkmcnt(1)
	v_pk_fma_f32 v[34:35], s[4:5], v[32:33], v[34:35] op_sel_hi:[1,0,1]
	v_pk_fma_f32 v[32:33], s[12:13], v[32:33], v[34:35] op_sel:[0,1,0]
	ds_write_b64 v36, v[32:33]
	s_or_b64 exec, exec, s[0:1]
	s_mov_b64 s[20:21], -1
	s_and_saveexec_b64 s[0:1], vcc
	s_cbranch_execz .LBB14_31
.LBB14_37:                              ;   in Loop: Header=BB14_32 Depth=2
	v_add_co_u32_e32 v12, vcc, 32, v12
	v_addc_co_u32_e32 v13, vcc, 0, v13, vcc
	v_add_co_u32_e32 v16, vcc, 0x80, v16
	v_addc_co_u32_e32 v17, vcc, 0, v17, vcc
	;; [unrolled: 2-line block ×3, first 2 shown]
	v_cmp_ge_i64_e32 vcc, v[12:13], v[4:5]
	s_orn2_b64 s[20:21], vcc, exec
	s_branch .LBB14_31
.LBB14_38:                              ;   in Loop: Header=BB14_19 Depth=1
	s_or_b64 exec, exec, s[16:17]
.LBB14_39:                              ;   in Loop: Header=BB14_19 Depth=1
	s_or_b64 exec, exec, s[14:15]
	s_waitcnt lgkmcnt(0)
	ds_read_u8 v16, v29
	s_waitcnt lgkmcnt(0)
	v_and_b32_e32 v17, 1, v16
	v_cmp_eq_u32_e64 s[0:1], 1, v17
	v_cmp_ne_u16_e32 vcc, 0, v16
	s_and_saveexec_b64 s[14:15], s[0:1]
	s_cbranch_execz .LBB14_18
; %bb.40:                               ;   in Loop: Header=BB14_19 Depth=1
	v_and_b32_e32 v16, vcc_lo, v22
	v_bcnt_u32_b32 v16, v16, 0
	v_add_co_u32_e64 v16, s[0:1], v6, v16
	v_addc_co_u32_e64 v17, s[0:1], 0, v1, s[0:1]
	v_lshlrev_b64 v[18:19], 2, v[16:17]
	v_mov_b32_e32 v31, s23
	v_add_co_u32_e64 v18, s[0:1], s22, v18
	v_add_u32_e32 v14, v23, v14
	v_addc_co_u32_e64 v19, s[0:1], v31, v19, s[0:1]
	global_store_dword v[18:19], v14, off
	ds_read_b64 v[18:19], v0
	v_lshlrev_b64 v[16:17], 3, v[16:17]
	v_mov_b32_e32 v14, s29
	v_add_co_u32_e64 v16, s[0:1], s28, v16
	v_addc_co_u32_e64 v17, s[0:1], v14, v17, s[0:1]
	s_waitcnt lgkmcnt(0)
	global_store_dwordx2 v[16:17], v[18:19], off
	s_branch .LBB14_18
.LBB14_41:
	s_endpgm
	.section	.rodata,"a",@progbits
	.p2align	6, 0x0
	.amdhsa_kernel _ZN9rocsparseL29csrgeam_fill_multipass_kernelILj256ELj32Eli21rocsparse_complex_numIfEEEvllNS_24const_host_device_scalarIT3_EEPKT1_PKT2_PKS4_S5_S8_SB_SD_S8_PS9_PS4_21rocsparse_index_base_SG_SG_bbb
		.amdhsa_group_segment_fixed_size 2304
		.amdhsa_private_segment_fixed_size 0
		.amdhsa_kernarg_size 120
		.amdhsa_user_sgpr_count 6
		.amdhsa_user_sgpr_private_segment_buffer 1
		.amdhsa_user_sgpr_dispatch_ptr 0
		.amdhsa_user_sgpr_queue_ptr 0
		.amdhsa_user_sgpr_kernarg_segment_ptr 1
		.amdhsa_user_sgpr_dispatch_id 0
		.amdhsa_user_sgpr_flat_scratch_init 0
		.amdhsa_user_sgpr_kernarg_preload_length 0
		.amdhsa_user_sgpr_kernarg_preload_offset 0
		.amdhsa_user_sgpr_private_segment_size 0
		.amdhsa_uses_dynamic_stack 0
		.amdhsa_system_sgpr_private_segment_wavefront_offset 0
		.amdhsa_system_sgpr_workgroup_id_x 1
		.amdhsa_system_sgpr_workgroup_id_y 0
		.amdhsa_system_sgpr_workgroup_id_z 0
		.amdhsa_system_sgpr_workgroup_info 0
		.amdhsa_system_vgpr_workitem_id 0
		.amdhsa_next_free_vgpr 37
		.amdhsa_next_free_sgpr 40
		.amdhsa_accum_offset 40
		.amdhsa_reserve_vcc 1
		.amdhsa_reserve_flat_scratch 0
		.amdhsa_float_round_mode_32 0
		.amdhsa_float_round_mode_16_64 0
		.amdhsa_float_denorm_mode_32 3
		.amdhsa_float_denorm_mode_16_64 3
		.amdhsa_dx10_clamp 1
		.amdhsa_ieee_mode 1
		.amdhsa_fp16_overflow 0
		.amdhsa_tg_split 0
		.amdhsa_exception_fp_ieee_invalid_op 0
		.amdhsa_exception_fp_denorm_src 0
		.amdhsa_exception_fp_ieee_div_zero 0
		.amdhsa_exception_fp_ieee_overflow 0
		.amdhsa_exception_fp_ieee_underflow 0
		.amdhsa_exception_fp_ieee_inexact 0
		.amdhsa_exception_int_div_zero 0
	.end_amdhsa_kernel
	.section	.text._ZN9rocsparseL29csrgeam_fill_multipass_kernelILj256ELj32Eli21rocsparse_complex_numIfEEEvllNS_24const_host_device_scalarIT3_EEPKT1_PKT2_PKS4_S5_S8_SB_SD_S8_PS9_PS4_21rocsparse_index_base_SG_SG_bbb,"axG",@progbits,_ZN9rocsparseL29csrgeam_fill_multipass_kernelILj256ELj32Eli21rocsparse_complex_numIfEEEvllNS_24const_host_device_scalarIT3_EEPKT1_PKT2_PKS4_S5_S8_SB_SD_S8_PS9_PS4_21rocsparse_index_base_SG_SG_bbb,comdat
.Lfunc_end14:
	.size	_ZN9rocsparseL29csrgeam_fill_multipass_kernelILj256ELj32Eli21rocsparse_complex_numIfEEEvllNS_24const_host_device_scalarIT3_EEPKT1_PKT2_PKS4_S5_S8_SB_SD_S8_PS9_PS4_21rocsparse_index_base_SG_SG_bbb, .Lfunc_end14-_ZN9rocsparseL29csrgeam_fill_multipass_kernelILj256ELj32Eli21rocsparse_complex_numIfEEEvllNS_24const_host_device_scalarIT3_EEPKT1_PKT2_PKS4_S5_S8_SB_SD_S8_PS9_PS4_21rocsparse_index_base_SG_SG_bbb
                                        ; -- End function
	.section	.AMDGPU.csdata,"",@progbits
; Kernel info:
; codeLenInByte = 1640
; NumSgprs: 44
; NumVgprs: 37
; NumAgprs: 0
; TotalNumVgprs: 37
; ScratchSize: 0
; MemoryBound: 0
; FloatMode: 240
; IeeeMode: 1
; LDSByteSize: 2304 bytes/workgroup (compile time only)
; SGPRBlocks: 5
; VGPRBlocks: 4
; NumSGPRsForWavesPerEU: 44
; NumVGPRsForWavesPerEU: 37
; AccumOffset: 40
; Occupancy: 8
; WaveLimiterHint : 1
; COMPUTE_PGM_RSRC2:SCRATCH_EN: 0
; COMPUTE_PGM_RSRC2:USER_SGPR: 6
; COMPUTE_PGM_RSRC2:TRAP_HANDLER: 0
; COMPUTE_PGM_RSRC2:TGID_X_EN: 1
; COMPUTE_PGM_RSRC2:TGID_Y_EN: 0
; COMPUTE_PGM_RSRC2:TGID_Z_EN: 0
; COMPUTE_PGM_RSRC2:TIDIG_COMP_CNT: 0
; COMPUTE_PGM_RSRC3_GFX90A:ACCUM_OFFSET: 9
; COMPUTE_PGM_RSRC3_GFX90A:TG_SPLIT: 0
	.section	.text._ZN9rocsparseL29csrgeam_fill_multipass_kernelILj256ELj64Eli21rocsparse_complex_numIfEEEvllNS_24const_host_device_scalarIT3_EEPKT1_PKT2_PKS4_S5_S8_SB_SD_S8_PS9_PS4_21rocsparse_index_base_SG_SG_bbb,"axG",@progbits,_ZN9rocsparseL29csrgeam_fill_multipass_kernelILj256ELj64Eli21rocsparse_complex_numIfEEEvllNS_24const_host_device_scalarIT3_EEPKT1_PKT2_PKS4_S5_S8_SB_SD_S8_PS9_PS4_21rocsparse_index_base_SG_SG_bbb,comdat
	.globl	_ZN9rocsparseL29csrgeam_fill_multipass_kernelILj256ELj64Eli21rocsparse_complex_numIfEEEvllNS_24const_host_device_scalarIT3_EEPKT1_PKT2_PKS4_S5_S8_SB_SD_S8_PS9_PS4_21rocsparse_index_base_SG_SG_bbb ; -- Begin function _ZN9rocsparseL29csrgeam_fill_multipass_kernelILj256ELj64Eli21rocsparse_complex_numIfEEEvllNS_24const_host_device_scalarIT3_EEPKT1_PKT2_PKS4_S5_S8_SB_SD_S8_PS9_PS4_21rocsparse_index_base_SG_SG_bbb
	.p2align	8
	.type	_ZN9rocsparseL29csrgeam_fill_multipass_kernelILj256ELj64Eli21rocsparse_complex_numIfEEEvllNS_24const_host_device_scalarIT3_EEPKT1_PKT2_PKS4_S5_S8_SB_SD_S8_PS9_PS4_21rocsparse_index_base_SG_SG_bbb,@function
_ZN9rocsparseL29csrgeam_fill_multipass_kernelILj256ELj64Eli21rocsparse_complex_numIfEEEvllNS_24const_host_device_scalarIT3_EEPKT1_PKT2_PKS4_S5_S8_SB_SD_S8_PS9_PS4_21rocsparse_index_base_SG_SG_bbb: ; @_ZN9rocsparseL29csrgeam_fill_multipass_kernelILj256ELj64Eli21rocsparse_complex_numIfEEEvllNS_24const_host_device_scalarIT3_EEPKT1_PKT2_PKS4_S5_S8_SB_SD_S8_PS9_PS4_21rocsparse_index_base_SG_SG_bbb
; %bb.0:
	s_load_dwordx8 s[8:15], s[4:5], 0x40
	s_load_dword s7, s[4:5], 0x74
	s_load_dwordx8 s[16:23], s[4:5], 0x0
	s_load_dwordx8 s[24:31], s[4:5], 0x20
	s_load_dwordx2 s[34:35], s[4:5], 0x60
	s_load_dwordx4 s[36:39], s[4:5], 0x68
	s_waitcnt lgkmcnt(0)
	s_bitcmp1_b32 s7, 16
	s_cselect_b64 s[0:1], -1, 0
	s_xor_b64 s[0:1], s[0:1], -1
	s_mov_b32 s3, 0
	v_cndmask_b32_e64 v1, 0, 1, s[0:1]
	s_bitcmp0_b32 s39, 0
	v_cmp_ne_u32_e64 s[0:1], 1, v1
	s_mov_b32 s2, s3
	s_cbranch_scc1 .LBB15_6
; %bb.1:
	s_and_b64 vcc, exec, s[0:1]
	s_mov_b32 s2, s20
	s_cbranch_vccnz .LBB15_3
; %bb.2:
	s_load_dword s2, s[20:21], 0x0
.LBB15_3:
	s_and_b64 vcc, exec, s[0:1]
	s_cbranch_vccnz .LBB15_5
; %bb.4:
	s_load_dword s21, s[20:21], 0x4
.LBB15_5:
	s_waitcnt lgkmcnt(0)
	s_mov_b32 s3, s21
.LBB15_6:
	s_mov_b32 s5, 0
	s_bfe_u32 s4, s7, 0x10008
	s_cmp_eq_u32 s4, 0
	s_mov_b32 s4, s5
	s_cbranch_scc1 .LBB15_12
; %bb.7:
	s_and_b64 vcc, exec, s[0:1]
	s_mov_b32 s4, s28
	s_cbranch_vccnz .LBB15_9
; %bb.8:
	s_load_dword s4, s[28:29], 0x0
.LBB15_9:
	s_and_b64 vcc, exec, s[0:1]
	s_cbranch_vccnz .LBB15_11
; %bb.10:
	s_load_dword s29, s[28:29], 0x4
.LBB15_11:
	s_waitcnt lgkmcnt(0)
	s_mov_b32 s5, s29
.LBB15_12:
	s_lshl_b32 s0, s6, 2
	v_lshrrev_b32_e32 v1, 6, v0
	s_and_b32 s0, s0, 0x3fffffc
	v_or_b32_e32 v2, s0, v1
	v_mov_b32_e32 v3, 0
	v_cmp_gt_i64_e32 vcc, s[16:17], v[2:3]
	s_and_saveexec_b64 s[0:1], vcc
	s_cbranch_execz .LBB15_41
; %bb.13:
	v_lshlrev_b32_e32 v1, 3, v2
	global_load_dwordx4 v[2:5], v1, s[22:23]
	global_load_dwordx4 v[6:9], v1, s[30:31]
	global_load_dwordx2 v[12:13], v1, s[12:13]
	s_mov_b32 s7, 0
	s_mov_b32 s6, s36
	s_waitcnt vmcnt(2)
	v_subrev_co_u32_e32 v10, vcc, s36, v2
	v_subbrev_co_u32_e32 v11, vcc, 0, v3, vcc
	v_cmp_ge_i64_e32 vcc, v[2:3], v[4:5]
	s_and_saveexec_b64 s[0:1], vcc
	s_xor_b64 s[0:1], exec, s[0:1]
	s_or_saveexec_b64 s[0:1], s[0:1]
	v_mov_b32_e32 v16, s18
	s_xor_b64 exec, exec, s[0:1]
	s_cbranch_execz .LBB15_15
; %bb.14:
	v_lshlrev_b64 v[2:3], 2, v[10:11]
	v_mov_b32_e32 v1, s25
	v_add_co_u32_e32 v2, vcc, s24, v2
	v_addc_co_u32_e32 v3, vcc, v1, v3, vcc
	global_load_dword v1, v[2:3], off
	s_waitcnt vmcnt(0)
	v_subrev_u32_e32 v16, s36, v1
.LBB15_15:
	s_or_b64 exec, exec, s[0:1]
	s_waitcnt vmcnt(1)
	v_subrev_co_u32_e32 v14, vcc, s37, v6
	v_subbrev_co_u32_e32 v15, vcc, 0, v7, vcc
	s_mov_b32 s12, 0
	s_mov_b32 s13, s37
	v_cmp_ge_i64_e32 vcc, v[6:7], v[8:9]
	s_and_saveexec_b64 s[0:1], vcc
	s_xor_b64 s[0:1], exec, s[0:1]
	s_or_saveexec_b64 s[0:1], s[0:1]
	v_mov_b32_e32 v7, s18
	v_mov_b32_e32 v17, s18
	s_xor_b64 exec, exec, s[0:1]
	s_cbranch_execz .LBB15_17
; %bb.16:
	v_lshlrev_b64 v[2:3], 2, v[14:15]
	v_mov_b32_e32 v1, s9
	v_add_co_u32_e32 v2, vcc, s8, v2
	v_addc_co_u32_e32 v3, vcc, v1, v3, vcc
	global_load_dword v1, v[2:3], off
	v_mov_b32_e32 v7, s18
	s_waitcnt vmcnt(0)
	v_subrev_u32_e32 v17, s37, v1
.LBB15_17:
	s_or_b64 exec, exec, s[0:1]
	v_and_b32_e32 v1, 0xc0, v0
	v_or_b32_e32 v22, 0x800, v1
	v_lshlrev_b32_e32 v23, 3, v1
	v_mov_b32_e32 v1, s7
	v_subrev_co_u32_e32 v2, vcc, s6, v4
	v_subb_co_u32_e32 v3, vcc, v5, v1, vcc
	v_mov_b32_e32 v1, s12
	v_subrev_co_u32_e32 v4, vcc, s13, v8
	v_subb_co_u32_e32 v5, vcc, v9, v1, vcc
	s_waitcnt vmcnt(0)
	v_subrev_co_u32_e32 v6, vcc, s38, v12
	v_subbrev_co_u32_e32 v1, vcc, 0, v13, vcc
	v_and_b32_e32 v9, 63, v0
	v_add_co_u32_e32 v10, vcc, v10, v9
	v_addc_co_u32_e32 v11, vcc, 0, v11, vcc
	v_add_co_u32_e32 v12, vcc, v14, v9
	v_mbcnt_lo_u32_b32 v14, -1, 0
	v_min_i32_e32 v16, v17, v16
	v_mbcnt_hi_u32_b32 v17, -1, v14
	v_and_b32_e32 v14, 64, v17
	v_addc_co_u32_e32 v13, vcc, 0, v15, vcc
	v_add_u32_e32 v18, 64, v14
	v_xor_b32_e32 v19, 32, v17
	v_cmp_lt_i32_e32 vcc, v19, v18
	v_cndmask_b32_e32 v19, v17, v19, vcc
	v_lshlrev_b32_e32 v25, 2, v19
	v_xor_b32_e32 v19, 16, v17
	v_cmp_lt_i32_e32 vcc, v19, v18
	v_cndmask_b32_e32 v19, v17, v19, vcc
	v_lshlrev_b32_e32 v26, 2, v19
	v_xor_b32_e32 v19, 8, v17
	v_cmp_lt_i32_e32 vcc, v19, v18
	v_cndmask_b32_e32 v19, v17, v19, vcc
	v_lshlrev_b32_e32 v27, 2, v19
	v_xor_b32_e32 v19, 4, v17
	s_xor_b32 s6, s3, 0x80000000
	s_xor_b32 s12, s5, 0x80000000
	v_cmp_lt_i32_e32 vcc, v19, v18
	v_cndmask_b32_e32 v19, v17, v19, vcc
	s_add_u32 s22, s14, -4
	v_lshlrev_b32_e32 v28, 2, v19
	v_xor_b32_e32 v19, 2, v17
	s_addc_u32 s23, s15, -1
	v_cmp_lt_i32_e32 vcc, v19, v18
	s_add_u32 s28, s34, -8
	v_cndmask_b32_e32 v19, v17, v19, vcc
	s_addc_u32 s29, s35, -1
	v_lshlrev_b32_e32 v29, 2, v19
	v_xor_b32_e32 v19, 1, v17
	s_add_u32 s26, s26, 4
	v_cmp_lt_i32_e32 vcc, v19, v18
	s_addc_u32 s27, s27, 0
	v_mov_b32_e32 v8, 0
	v_xor_b32_e32 v14, 63, v9
	v_cndmask_b32_e32 v17, v17, v19, vcc
	s_add_u32 s30, s10, 4
	v_lshl_or_b32 v0, v9, 3, v23
	v_lshrrev_b64 v[14:15], v14, -1
	v_add_u32_e32 v24, s38, v9
	v_lshlrev_b32_e32 v30, 2, v17
	s_mov_b32 s7, s2
	s_mov_b32 s13, s4
	s_addc_u32 s31, s11, 0
	s_mov_b64 s[10:11], 0
	v_add_u32_e32 v31, v22, v9
	v_mov_b32_e32 v9, v8
	v_mov_b32_e32 v32, 1
	s_branch .LBB15_19
.LBB15_18:                              ;   in Loop: Header=BB15_19 Depth=1
	s_or_b64 exec, exec, s[14:15]
	ds_bpermute_b32 v16, v25, v17
	s_bcnt1_i32_b64 s0, vcc
	s_waitcnt lgkmcnt(0)
	v_min_i32_e32 v16, v16, v17
	ds_bpermute_b32 v17, v26, v16
	s_waitcnt lgkmcnt(0)
	v_min_i32_e32 v16, v17, v16
	ds_bpermute_b32 v17, v27, v16
	s_waitcnt lgkmcnt(0)
	v_min_i32_e32 v16, v17, v16
	ds_bpermute_b32 v17, v28, v16
	s_waitcnt lgkmcnt(0)
	v_min_i32_e32 v16, v17, v16
	ds_bpermute_b32 v17, v29, v16
	s_waitcnt lgkmcnt(0)
	v_min_i32_e32 v16, v17, v16
	ds_bpermute_b32 v17, v30, v16
	s_waitcnt lgkmcnt(0)
	v_min_i32_e32 v16, v17, v16
	v_ashrrev_i32_e32 v17, 31, v16
	v_cmp_le_i64_e32 vcc, s[18:19], v[16:17]
	s_or_b64 s[10:11], vcc, s[10:11]
	v_add_co_u32_e32 v6, vcc, s0, v6
	v_addc_co_u32_e32 v1, vcc, 0, v1, vcc
	s_andn2_b64 exec, exec, s[10:11]
	s_cbranch_execz .LBB15_41
.LBB15_19:                              ; =>This Loop Header: Depth=1
                                        ;     Child Loop BB15_22 Depth 2
                                        ;     Child Loop BB15_32 Depth 2
	v_cmp_lt_i64_e32 vcc, v[10:11], v[2:3]
	v_mov_b32_e32 v17, v7
	ds_write_b8 v31, v8
	ds_write_b64 v0, v[8:9]
	s_waitcnt lgkmcnt(0)
	s_and_saveexec_b64 s[14:15], vcc
	s_cbranch_execz .LBB15_29
; %bb.20:                               ;   in Loop: Header=BB15_19 Depth=1
	v_lshlrev_b64 v[18:19], 2, v[10:11]
	v_mov_b32_e32 v17, s25
	v_add_co_u32_e32 v18, vcc, s24, v18
	v_addc_co_u32_e32 v19, vcc, v17, v19, vcc
	v_lshlrev_b64 v[20:21], 3, v[10:11]
	v_mov_b32_e32 v17, s27
	v_add_co_u32_e32 v20, vcc, s26, v20
	v_addc_co_u32_e32 v21, vcc, v17, v21, vcc
	s_mov_b64 s[16:17], 0
	v_mov_b32_e32 v17, v7
	s_branch .LBB15_22
.LBB15_21:                              ;   in Loop: Header=BB15_22 Depth=2
	s_or_b64 exec, exec, s[0:1]
	s_and_b64 s[0:1], exec, s[20:21]
	s_or_b64 s[16:17], s[0:1], s[16:17]
	s_andn2_b64 exec, exec, s[16:17]
	s_cbranch_execz .LBB15_28
.LBB15_22:                              ;   Parent Loop BB15_19 Depth=1
                                        ; =>  This Inner Loop Header: Depth=2
	global_load_dword v33, v[18:19], off
	s_waitcnt vmcnt(0)
	v_subrev_u32_e32 v34, s36, v33
	v_sub_u32_e32 v33, v34, v16
	v_cmp_gt_u32_e32 vcc, 64, v33
	v_cmp_lt_u32_e64 s[0:1], 63, v33
	s_and_saveexec_b64 s[20:21], s[0:1]
	s_xor_b64 s[0:1], exec, s[20:21]
	s_cbranch_execnz .LBB15_25
; %bb.23:                               ;   in Loop: Header=BB15_22 Depth=2
	s_andn2_saveexec_b64 s[0:1], s[0:1]
	s_cbranch_execnz .LBB15_26
.LBB15_24:                              ;   in Loop: Header=BB15_22 Depth=2
	s_or_b64 exec, exec, s[0:1]
	s_mov_b64 s[20:21], -1
	s_and_saveexec_b64 s[0:1], vcc
	s_cbranch_execz .LBB15_21
	s_branch .LBB15_27
.LBB15_25:                              ;   in Loop: Header=BB15_22 Depth=2
	v_min_i32_e32 v17, v34, v17
                                        ; implicit-def: $vgpr33
	s_andn2_saveexec_b64 s[0:1], s[0:1]
	s_cbranch_execz .LBB15_24
.LBB15_26:                              ;   in Loop: Header=BB15_22 Depth=2
	global_load_dwordx2 v[34:35], v[20:21], off offset:-4
	v_add_u32_e32 v36, v22, v33
	ds_write_b8 v36, v32
	v_lshl_add_u32 v33, v33, 3, v23
	s_waitcnt vmcnt(0)
	v_pk_mul_f32 v[36:37], v[34:35], s[6:7] op_sel:[1,0]
	v_pk_fma_f32 v[34:35], s[2:3], v[34:35], v[36:37] op_sel_hi:[1,0,1]
	ds_write_b64 v33, v[34:35]
	s_or_b64 exec, exec, s[0:1]
	s_mov_b64 s[20:21], -1
	s_and_saveexec_b64 s[0:1], vcc
	s_cbranch_execz .LBB15_21
.LBB15_27:                              ;   in Loop: Header=BB15_22 Depth=2
	v_add_co_u32_e32 v10, vcc, 64, v10
	v_addc_co_u32_e32 v11, vcc, 0, v11, vcc
	v_add_co_u32_e32 v18, vcc, 0x100, v18
	v_addc_co_u32_e32 v19, vcc, 0, v19, vcc
	;; [unrolled: 2-line block ×3, first 2 shown]
	v_cmp_ge_i64_e32 vcc, v[10:11], v[2:3]
	s_orn2_b64 s[20:21], vcc, exec
	s_branch .LBB15_21
.LBB15_28:                              ;   in Loop: Header=BB15_19 Depth=1
	s_or_b64 exec, exec, s[16:17]
.LBB15_29:                              ;   in Loop: Header=BB15_19 Depth=1
	s_or_b64 exec, exec, s[14:15]
	v_cmp_lt_i64_e32 vcc, v[12:13], v[4:5]
	s_waitcnt lgkmcnt(0)
	s_and_saveexec_b64 s[14:15], vcc
	s_cbranch_execz .LBB15_39
; %bb.30:                               ;   in Loop: Header=BB15_19 Depth=1
	v_lshlrev_b64 v[18:19], 2, v[12:13]
	v_mov_b32_e32 v20, s9
	v_add_co_u32_e32 v18, vcc, s8, v18
	v_addc_co_u32_e32 v19, vcc, v20, v19, vcc
	v_lshlrev_b64 v[20:21], 3, v[12:13]
	v_mov_b32_e32 v33, s31
	v_add_co_u32_e32 v20, vcc, s30, v20
	v_addc_co_u32_e32 v21, vcc, v33, v21, vcc
	s_mov_b64 s[16:17], 0
	s_branch .LBB15_32
.LBB15_31:                              ;   in Loop: Header=BB15_32 Depth=2
	s_or_b64 exec, exec, s[0:1]
	s_and_b64 s[0:1], exec, s[20:21]
	s_or_b64 s[16:17], s[0:1], s[16:17]
	s_andn2_b64 exec, exec, s[16:17]
	s_cbranch_execz .LBB15_38
.LBB15_32:                              ;   Parent Loop BB15_19 Depth=1
                                        ; =>  This Inner Loop Header: Depth=2
	global_load_dword v33, v[18:19], off
	s_waitcnt vmcnt(0)
	v_subrev_u32_e32 v34, s37, v33
	v_sub_u32_e32 v33, v34, v16
	v_cmp_gt_u32_e32 vcc, 64, v33
	v_cmp_lt_u32_e64 s[0:1], 63, v33
	s_and_saveexec_b64 s[20:21], s[0:1]
	s_xor_b64 s[0:1], exec, s[20:21]
	s_cbranch_execnz .LBB15_35
; %bb.33:                               ;   in Loop: Header=BB15_32 Depth=2
	s_andn2_saveexec_b64 s[0:1], s[0:1]
	s_cbranch_execnz .LBB15_36
.LBB15_34:                              ;   in Loop: Header=BB15_32 Depth=2
	s_or_b64 exec, exec, s[0:1]
	s_mov_b64 s[20:21], -1
	s_and_saveexec_b64 s[0:1], vcc
	s_cbranch_execz .LBB15_31
	s_branch .LBB15_37
.LBB15_35:                              ;   in Loop: Header=BB15_32 Depth=2
	v_min_i32_e32 v17, v34, v17
                                        ; implicit-def: $vgpr33
	s_andn2_saveexec_b64 s[0:1], s[0:1]
	s_cbranch_execz .LBB15_34
.LBB15_36:                              ;   in Loop: Header=BB15_32 Depth=2
	global_load_dwordx2 v[34:35], v[20:21], off offset:-4
	v_lshl_add_u32 v38, v33, 3, v23
	ds_read_b64 v[36:37], v38
	v_add_u32_e32 v33, v22, v33
	ds_write_b8 v33, v32
	s_waitcnt vmcnt(0) lgkmcnt(1)
	v_pk_fma_f32 v[36:37], s[4:5], v[34:35], v[36:37] op_sel_hi:[1,0,1]
	v_pk_fma_f32 v[34:35], s[12:13], v[34:35], v[36:37] op_sel:[0,1,0]
	ds_write_b64 v38, v[34:35]
	s_or_b64 exec, exec, s[0:1]
	s_mov_b64 s[20:21], -1
	s_and_saveexec_b64 s[0:1], vcc
	s_cbranch_execz .LBB15_31
.LBB15_37:                              ;   in Loop: Header=BB15_32 Depth=2
	v_add_co_u32_e32 v12, vcc, 64, v12
	v_addc_co_u32_e32 v13, vcc, 0, v13, vcc
	v_add_co_u32_e32 v18, vcc, 0x100, v18
	v_addc_co_u32_e32 v19, vcc, 0, v19, vcc
	v_add_co_u32_e32 v20, vcc, 0x200, v20
	v_addc_co_u32_e32 v21, vcc, 0, v21, vcc
	v_cmp_ge_i64_e32 vcc, v[12:13], v[4:5]
	s_orn2_b64 s[20:21], vcc, exec
	s_branch .LBB15_31
.LBB15_38:                              ;   in Loop: Header=BB15_19 Depth=1
	s_or_b64 exec, exec, s[16:17]
.LBB15_39:                              ;   in Loop: Header=BB15_19 Depth=1
	s_or_b64 exec, exec, s[14:15]
	s_waitcnt lgkmcnt(0)
	ds_read_u8 v18, v31
	s_waitcnt lgkmcnt(0)
	v_and_b32_e32 v19, 1, v18
	v_cmp_eq_u32_e64 s[0:1], 1, v19
	v_cmp_ne_u16_e32 vcc, 0, v18
	s_and_saveexec_b64 s[14:15], s[0:1]
	s_cbranch_execz .LBB15_18
; %bb.40:                               ;   in Loop: Header=BB15_19 Depth=1
	v_and_b32_e32 v19, vcc_lo, v14
	v_and_b32_e32 v18, vcc_hi, v15
	v_bcnt_u32_b32 v19, v19, 0
	v_bcnt_u32_b32 v18, v18, v19
	v_add_co_u32_e64 v18, s[0:1], v6, v18
	v_addc_co_u32_e64 v19, s[0:1], 0, v1, s[0:1]
	v_lshlrev_b64 v[20:21], 2, v[18:19]
	v_mov_b32_e32 v33, s23
	v_add_co_u32_e64 v20, s[0:1], s22, v20
	v_add_u32_e32 v16, v24, v16
	v_addc_co_u32_e64 v21, s[0:1], v33, v21, s[0:1]
	global_store_dword v[20:21], v16, off
	ds_read_b64 v[20:21], v0
	v_lshlrev_b64 v[18:19], 3, v[18:19]
	v_mov_b32_e32 v16, s29
	v_add_co_u32_e64 v18, s[0:1], s28, v18
	v_addc_co_u32_e64 v19, s[0:1], v16, v19, s[0:1]
	s_waitcnt lgkmcnt(0)
	global_store_dwordx2 v[18:19], v[20:21], off
	s_branch .LBB15_18
.LBB15_41:
	s_endpgm
	.section	.rodata,"a",@progbits
	.p2align	6, 0x0
	.amdhsa_kernel _ZN9rocsparseL29csrgeam_fill_multipass_kernelILj256ELj64Eli21rocsparse_complex_numIfEEEvllNS_24const_host_device_scalarIT3_EEPKT1_PKT2_PKS4_S5_S8_SB_SD_S8_PS9_PS4_21rocsparse_index_base_SG_SG_bbb
		.amdhsa_group_segment_fixed_size 2304
		.amdhsa_private_segment_fixed_size 0
		.amdhsa_kernarg_size 120
		.amdhsa_user_sgpr_count 6
		.amdhsa_user_sgpr_private_segment_buffer 1
		.amdhsa_user_sgpr_dispatch_ptr 0
		.amdhsa_user_sgpr_queue_ptr 0
		.amdhsa_user_sgpr_kernarg_segment_ptr 1
		.amdhsa_user_sgpr_dispatch_id 0
		.amdhsa_user_sgpr_flat_scratch_init 0
		.amdhsa_user_sgpr_kernarg_preload_length 0
		.amdhsa_user_sgpr_kernarg_preload_offset 0
		.amdhsa_user_sgpr_private_segment_size 0
		.amdhsa_uses_dynamic_stack 0
		.amdhsa_system_sgpr_private_segment_wavefront_offset 0
		.amdhsa_system_sgpr_workgroup_id_x 1
		.amdhsa_system_sgpr_workgroup_id_y 0
		.amdhsa_system_sgpr_workgroup_id_z 0
		.amdhsa_system_sgpr_workgroup_info 0
		.amdhsa_system_vgpr_workitem_id 0
		.amdhsa_next_free_vgpr 39
		.amdhsa_next_free_sgpr 40
		.amdhsa_accum_offset 40
		.amdhsa_reserve_vcc 1
		.amdhsa_reserve_flat_scratch 0
		.amdhsa_float_round_mode_32 0
		.amdhsa_float_round_mode_16_64 0
		.amdhsa_float_denorm_mode_32 3
		.amdhsa_float_denorm_mode_16_64 3
		.amdhsa_dx10_clamp 1
		.amdhsa_ieee_mode 1
		.amdhsa_fp16_overflow 0
		.amdhsa_tg_split 0
		.amdhsa_exception_fp_ieee_invalid_op 0
		.amdhsa_exception_fp_denorm_src 0
		.amdhsa_exception_fp_ieee_div_zero 0
		.amdhsa_exception_fp_ieee_overflow 0
		.amdhsa_exception_fp_ieee_underflow 0
		.amdhsa_exception_fp_ieee_inexact 0
		.amdhsa_exception_int_div_zero 0
	.end_amdhsa_kernel
	.section	.text._ZN9rocsparseL29csrgeam_fill_multipass_kernelILj256ELj64Eli21rocsparse_complex_numIfEEEvllNS_24const_host_device_scalarIT3_EEPKT1_PKT2_PKS4_S5_S8_SB_SD_S8_PS9_PS4_21rocsparse_index_base_SG_SG_bbb,"axG",@progbits,_ZN9rocsparseL29csrgeam_fill_multipass_kernelILj256ELj64Eli21rocsparse_complex_numIfEEEvllNS_24const_host_device_scalarIT3_EEPKT1_PKT2_PKS4_S5_S8_SB_SD_S8_PS9_PS4_21rocsparse_index_base_SG_SG_bbb,comdat
.Lfunc_end15:
	.size	_ZN9rocsparseL29csrgeam_fill_multipass_kernelILj256ELj64Eli21rocsparse_complex_numIfEEEvllNS_24const_host_device_scalarIT3_EEPKT1_PKT2_PKS4_S5_S8_SB_SD_S8_PS9_PS4_21rocsparse_index_base_SG_SG_bbb, .Lfunc_end15-_ZN9rocsparseL29csrgeam_fill_multipass_kernelILj256ELj64Eli21rocsparse_complex_numIfEEEvllNS_24const_host_device_scalarIT3_EEPKT1_PKT2_PKS4_S5_S8_SB_SD_S8_PS9_PS4_21rocsparse_index_base_SG_SG_bbb
                                        ; -- End function
	.section	.AMDGPU.csdata,"",@progbits
; Kernel info:
; codeLenInByte = 1684
; NumSgprs: 44
; NumVgprs: 39
; NumAgprs: 0
; TotalNumVgprs: 39
; ScratchSize: 0
; MemoryBound: 0
; FloatMode: 240
; IeeeMode: 1
; LDSByteSize: 2304 bytes/workgroup (compile time only)
; SGPRBlocks: 5
; VGPRBlocks: 4
; NumSGPRsForWavesPerEU: 44
; NumVGPRsForWavesPerEU: 39
; AccumOffset: 40
; Occupancy: 8
; WaveLimiterHint : 1
; COMPUTE_PGM_RSRC2:SCRATCH_EN: 0
; COMPUTE_PGM_RSRC2:USER_SGPR: 6
; COMPUTE_PGM_RSRC2:TRAP_HANDLER: 0
; COMPUTE_PGM_RSRC2:TGID_X_EN: 1
; COMPUTE_PGM_RSRC2:TGID_Y_EN: 0
; COMPUTE_PGM_RSRC2:TGID_Z_EN: 0
; COMPUTE_PGM_RSRC2:TIDIG_COMP_CNT: 0
; COMPUTE_PGM_RSRC3_GFX90A:ACCUM_OFFSET: 9
; COMPUTE_PGM_RSRC3_GFX90A:TG_SPLIT: 0
	.section	.text._ZN9rocsparseL29csrgeam_fill_multipass_kernelILj256ELj32Ell21rocsparse_complex_numIfEEEvllNS_24const_host_device_scalarIT3_EEPKT1_PKT2_PKS4_S5_S8_SB_SD_S8_PS9_PS4_21rocsparse_index_base_SG_SG_bbb,"axG",@progbits,_ZN9rocsparseL29csrgeam_fill_multipass_kernelILj256ELj32Ell21rocsparse_complex_numIfEEEvllNS_24const_host_device_scalarIT3_EEPKT1_PKT2_PKS4_S5_S8_SB_SD_S8_PS9_PS4_21rocsparse_index_base_SG_SG_bbb,comdat
	.globl	_ZN9rocsparseL29csrgeam_fill_multipass_kernelILj256ELj32Ell21rocsparse_complex_numIfEEEvllNS_24const_host_device_scalarIT3_EEPKT1_PKT2_PKS4_S5_S8_SB_SD_S8_PS9_PS4_21rocsparse_index_base_SG_SG_bbb ; -- Begin function _ZN9rocsparseL29csrgeam_fill_multipass_kernelILj256ELj32Ell21rocsparse_complex_numIfEEEvllNS_24const_host_device_scalarIT3_EEPKT1_PKT2_PKS4_S5_S8_SB_SD_S8_PS9_PS4_21rocsparse_index_base_SG_SG_bbb
	.p2align	8
	.type	_ZN9rocsparseL29csrgeam_fill_multipass_kernelILj256ELj32Ell21rocsparse_complex_numIfEEEvllNS_24const_host_device_scalarIT3_EEPKT1_PKT2_PKS4_S5_S8_SB_SD_S8_PS9_PS4_21rocsparse_index_base_SG_SG_bbb,@function
_ZN9rocsparseL29csrgeam_fill_multipass_kernelILj256ELj32Ell21rocsparse_complex_numIfEEEvllNS_24const_host_device_scalarIT3_EEPKT1_PKT2_PKS4_S5_S8_SB_SD_S8_PS9_PS4_21rocsparse_index_base_SG_SG_bbb: ; @_ZN9rocsparseL29csrgeam_fill_multipass_kernelILj256ELj32Ell21rocsparse_complex_numIfEEEvllNS_24const_host_device_scalarIT3_EEPKT1_PKT2_PKS4_S5_S8_SB_SD_S8_PS9_PS4_21rocsparse_index_base_SG_SG_bbb
; %bb.0:
	s_load_dwordx8 s[8:15], s[4:5], 0x40
	s_load_dword s7, s[4:5], 0x74
	s_load_dwordx8 s[16:23], s[4:5], 0x0
	s_load_dwordx8 s[24:31], s[4:5], 0x20
	s_load_dwordx2 s[34:35], s[4:5], 0x60
	s_load_dwordx4 s[36:39], s[4:5], 0x68
	s_waitcnt lgkmcnt(0)
	s_bitcmp1_b32 s7, 16
	s_cselect_b64 s[0:1], -1, 0
	s_xor_b64 s[0:1], s[0:1], -1
	s_mov_b32 s3, 0
	v_cndmask_b32_e64 v1, 0, 1, s[0:1]
	s_bitcmp0_b32 s39, 0
	v_cmp_ne_u32_e64 s[0:1], 1, v1
	s_mov_b32 s2, s3
	s_cbranch_scc1 .LBB16_6
; %bb.1:
	s_and_b64 vcc, exec, s[0:1]
	s_mov_b32 s2, s20
	s_cbranch_vccnz .LBB16_3
; %bb.2:
	s_load_dword s2, s[20:21], 0x0
.LBB16_3:
	s_and_b64 vcc, exec, s[0:1]
	s_cbranch_vccnz .LBB16_5
; %bb.4:
	s_load_dword s21, s[20:21], 0x4
.LBB16_5:
	s_waitcnt lgkmcnt(0)
	s_mov_b32 s3, s21
.LBB16_6:
	s_mov_b32 s5, 0
	s_bfe_u32 s4, s7, 0x10008
	s_cmp_eq_u32 s4, 0
	s_mov_b32 s4, s5
	s_cbranch_scc1 .LBB16_12
; %bb.7:
	s_and_b64 vcc, exec, s[0:1]
	s_mov_b32 s4, s28
	s_cbranch_vccnz .LBB16_9
; %bb.8:
	s_load_dword s4, s[28:29], 0x0
.LBB16_9:
	s_and_b64 vcc, exec, s[0:1]
	s_cbranch_vccnz .LBB16_11
; %bb.10:
	s_load_dword s29, s[28:29], 0x4
.LBB16_11:
	s_waitcnt lgkmcnt(0)
	s_mov_b32 s5, s29
.LBB16_12:
	s_lshl_b32 s0, s6, 3
	v_lshrrev_b32_e32 v1, 5, v0
	s_and_b32 s0, s0, 0x7fffff8
	v_or_b32_e32 v2, s0, v1
	v_mov_b32_e32 v3, 0
	v_cmp_gt_i64_e32 vcc, s[16:17], v[2:3]
	s_and_saveexec_b64 s[0:1], vcc
	s_cbranch_execz .LBB16_41
; %bb.13:
	v_lshlrev_b32_e32 v1, 3, v2
	global_load_dwordx4 v[2:5], v1, s[22:23]
	global_load_dwordx4 v[6:9], v1, s[30:31]
	global_load_dwordx2 v[12:13], v1, s[12:13]
	s_mov_b32 s22, 0
	s_mov_b32 s23, s36
	;; [unrolled: 1-line block ×3, first 2 shown]
	v_pk_mov_b32 v[14:15], s[18:19], s[18:19] op_sel:[0,1]
	s_waitcnt vmcnt(2)
	v_subrev_co_u32_e32 v10, vcc, s36, v2
	v_subbrev_co_u32_e32 v11, vcc, 0, v3, vcc
	v_cmp_lt_i64_e32 vcc, v[2:3], v[4:5]
	s_and_saveexec_b64 s[0:1], vcc
	s_cbranch_execz .LBB16_15
; %bb.14:
	v_lshlrev_b64 v[2:3], 3, v[10:11]
	v_mov_b32_e32 v1, s25
	v_add_co_u32_e32 v2, vcc, s24, v2
	v_addc_co_u32_e32 v3, vcc, v1, v3, vcc
	global_load_dwordx2 v[2:3], v[2:3], off
	v_mov_b32_e32 v1, s28
	s_waitcnt vmcnt(0)
	v_subrev_co_u32_e32 v14, vcc, s23, v2
	v_subb_co_u32_e32 v15, vcc, v3, v1, vcc
.LBB16_15:
	s_or_b64 exec, exec, s[0:1]
	s_waitcnt vmcnt(1)
	v_subrev_co_u32_e32 v16, vcc, s37, v6
	v_subbrev_co_u32_e32 v17, vcc, 0, v7, vcc
	s_mov_b32 s29, s37
	v_cmp_lt_i64_e32 vcc, v[6:7], v[8:9]
	v_pk_mov_b32 v[18:19], s[18:19], s[18:19] op_sel:[0,1]
	s_and_saveexec_b64 s[0:1], vcc
	s_cbranch_execz .LBB16_17
; %bb.16:
	v_lshlrev_b64 v[2:3], 3, v[16:17]
	v_mov_b32_e32 v1, s9
	v_add_co_u32_e32 v2, vcc, s8, v2
	v_addc_co_u32_e32 v3, vcc, v1, v3, vcc
	global_load_dwordx2 v[2:3], v[2:3], off
	v_mov_b32_e32 v1, s22
	s_waitcnt vmcnt(0)
	v_subrev_co_u32_e32 v18, vcc, s29, v2
	v_subb_co_u32_e32 v19, vcc, v3, v1, vcc
.LBB16_17:
	s_or_b64 exec, exec, s[0:1]
	v_and_b32_e32 v1, 0xe0, v0
	v_or_b32_e32 v7, 0x800, v1
	v_lshlrev_b32_e32 v26, 3, v1
	v_mov_b32_e32 v1, s28
	v_subrev_co_u32_e32 v2, vcc, s23, v4
	v_subb_co_u32_e32 v3, vcc, v5, v1, vcc
	v_mov_b32_e32 v1, s22
	v_subrev_co_u32_e32 v4, vcc, s29, v8
	v_subb_co_u32_e32 v5, vcc, v9, v1, vcc
	s_waitcnt vmcnt(0)
	v_subrev_co_u32_e32 v6, vcc, s38, v12
	v_subbrev_co_u32_e32 v1, vcc, 0, v13, vcc
	v_and_b32_e32 v9, 31, v0
	v_cmp_lt_i64_e32 vcc, v[18:19], v[14:15]
	v_cndmask_b32_e32 v15, v15, v19, vcc
	v_cndmask_b32_e32 v14, v14, v18, vcc
	v_add_co_u32_e32 v10, vcc, v10, v9
	v_addc_co_u32_e32 v11, vcc, 0, v11, vcc
	v_add_co_u32_e32 v12, vcc, v16, v9
	v_mbcnt_lo_u32_b32 v16, -1, 0
	v_mbcnt_hi_u32_b32 v16, -1, v16
	v_addc_co_u32_e32 v13, vcc, 0, v17, vcc
	v_and_b32_e32 v17, 64, v16
	v_xor_b32_e32 v18, 31, v9
	v_add_u32_e32 v17, 64, v17
	v_lshrrev_b32_e64 v27, v18, -1
	v_add_co_u32_e32 v28, vcc, s38, v9
	v_xor_b32_e32 v18, 16, v16
	v_addc_co_u32_e64 v29, s[0:1], 0, 0, vcc
	v_cmp_lt_i32_e32 vcc, v18, v17
	v_cndmask_b32_e32 v18, v16, v18, vcc
	v_lshlrev_b32_e32 v30, 2, v18
	v_xor_b32_e32 v18, 8, v16
	v_cmp_lt_i32_e32 vcc, v18, v17
	v_cndmask_b32_e32 v18, v16, v18, vcc
	v_lshlrev_b32_e32 v31, 2, v18
	v_xor_b32_e32 v18, 4, v16
	s_xor_b32 s6, s3, 0x80000000
	s_xor_b32 s12, s5, 0x80000000
	v_cmp_lt_i32_e32 vcc, v18, v17
	v_cndmask_b32_e32 v18, v16, v18, vcc
	s_add_u32 s30, s14, -8
	v_lshlrev_b32_e32 v32, 2, v18
	v_xor_b32_e32 v18, 2, v16
	s_addc_u32 s31, s15, -1
	v_cmp_lt_i32_e32 vcc, v18, v17
	s_add_u32 s33, s34, -8
	v_cndmask_b32_e32 v18, v16, v18, vcc
	s_addc_u32 s34, s35, -1
	v_lshlrev_b32_e32 v33, 2, v18
	v_xor_b32_e32 v18, 1, v16
	s_add_u32 s26, s26, 4
	v_cmp_lt_i32_e32 vcc, v18, v17
	s_addc_u32 s27, s27, 0
	v_mov_b32_e32 v8, 0
	v_cndmask_b32_e32 v16, v16, v18, vcc
	s_add_u32 s35, s10, 4
	v_lshl_or_b32 v0, v9, 3, v26
	v_lshlrev_b32_e32 v34, 2, v16
	s_mov_b32 s7, s2
	s_mov_b32 s13, s4
	s_addc_u32 s36, s11, 0
	s_mov_b64 s[10:11], 0
	v_add_u32_e32 v35, v7, v9
	v_mov_b32_e32 v9, v8
	v_mov_b32_e32 v36, 1
	s_branch .LBB16_19
.LBB16_18:                              ;   in Loop: Header=BB16_19 Depth=1
	s_or_b64 exec, exec, s[14:15]
	ds_bpermute_b32 v14, v30, v16
	ds_bpermute_b32 v15, v30, v17
	s_waitcnt lgkmcnt(0)
	v_cmp_lt_i64_e64 s[0:1], v[14:15], v[16:17]
	v_cndmask_b32_e64 v15, v17, v15, s[0:1]
	v_cndmask_b32_e64 v14, v16, v14, s[0:1]
	ds_bpermute_b32 v17, v31, v15
	ds_bpermute_b32 v16, v31, v14
	s_waitcnt lgkmcnt(0)
	v_cmp_lt_i64_e64 s[0:1], v[16:17], v[14:15]
	v_cndmask_b32_e64 v15, v15, v17, s[0:1]
	v_cndmask_b32_e64 v14, v14, v16, s[0:1]
	;; [unrolled: 6-line block ×4, first 2 shown]
	ds_bpermute_b32 v17, v34, v15
	ds_bpermute_b32 v16, v34, v14
	s_bcnt1_i32_b64 s0, vcc
	s_waitcnt lgkmcnt(0)
	v_cmp_lt_i64_e32 vcc, v[16:17], v[14:15]
	v_cndmask_b32_e32 v15, v15, v17, vcc
	v_cndmask_b32_e32 v14, v14, v16, vcc
	v_cmp_le_i64_e32 vcc, s[18:19], v[14:15]
	s_or_b64 s[10:11], vcc, s[10:11]
	v_add_co_u32_e32 v6, vcc, s0, v6
	v_addc_co_u32_e32 v1, vcc, 0, v1, vcc
	s_andn2_b64 exec, exec, s[10:11]
	s_cbranch_execz .LBB16_41
.LBB16_19:                              ; =>This Loop Header: Depth=1
                                        ;     Child Loop BB16_22 Depth 2
                                        ;     Child Loop BB16_32 Depth 2
	v_cmp_lt_i64_e32 vcc, v[10:11], v[2:3]
	v_pk_mov_b32 v[16:17], s[18:19], s[18:19] op_sel:[0,1]
	ds_write_b8 v35, v8
	ds_write_b64 v0, v[8:9]
	s_waitcnt lgkmcnt(0)
	s_and_saveexec_b64 s[14:15], vcc
	s_cbranch_execz .LBB16_29
; %bb.20:                               ;   in Loop: Header=BB16_19 Depth=1
	v_lshlrev_b64 v[16:17], 3, v[10:11]
	v_mov_b32_e32 v19, s25
	v_add_co_u32_e32 v18, vcc, s24, v16
	v_addc_co_u32_e32 v19, vcc, v19, v17, vcc
	v_mov_b32_e32 v21, s27
	v_add_co_u32_e32 v20, vcc, s26, v16
	v_addc_co_u32_e32 v21, vcc, v21, v17, vcc
	s_mov_b64 s[16:17], 0
	v_pk_mov_b32 v[16:17], s[18:19], s[18:19] op_sel:[0,1]
	s_branch .LBB16_22
.LBB16_21:                              ;   in Loop: Header=BB16_22 Depth=2
	s_or_b64 exec, exec, s[0:1]
	s_and_b64 s[0:1], exec, s[20:21]
	s_or_b64 s[16:17], s[0:1], s[16:17]
	s_andn2_b64 exec, exec, s[16:17]
	s_cbranch_execz .LBB16_28
.LBB16_22:                              ;   Parent Loop BB16_19 Depth=1
                                        ; =>  This Inner Loop Header: Depth=2
	global_load_dwordx2 v[22:23], v[18:19], off
	v_mov_b32_e32 v25, s28
	s_waitcnt vmcnt(0)
	v_subrev_co_u32_e32 v24, vcc, s23, v22
	v_subb_co_u32_e32 v25, vcc, v23, v25, vcc
	v_sub_co_u32_e32 v22, vcc, v24, v14
	v_subb_co_u32_e32 v23, vcc, v25, v15, vcc
	v_cmp_gt_i64_e32 vcc, 32, v[22:23]
	v_cmp_lt_i64_e64 s[0:1], 31, v[22:23]
	s_and_saveexec_b64 s[20:21], s[0:1]
	s_xor_b64 s[20:21], exec, s[20:21]
	s_cbranch_execnz .LBB16_25
; %bb.23:                               ;   in Loop: Header=BB16_22 Depth=2
	s_andn2_saveexec_b64 s[0:1], s[20:21]
	s_cbranch_execnz .LBB16_26
.LBB16_24:                              ;   in Loop: Header=BB16_22 Depth=2
	s_or_b64 exec, exec, s[0:1]
	s_mov_b64 s[20:21], -1
	s_and_saveexec_b64 s[0:1], vcc
	s_cbranch_execz .LBB16_21
	s_branch .LBB16_27
.LBB16_25:                              ;   in Loop: Header=BB16_22 Depth=2
	v_cmp_lt_i64_e64 s[0:1], v[24:25], v[16:17]
	v_cndmask_b32_e64 v17, v17, v25, s[0:1]
	v_cndmask_b32_e64 v16, v16, v24, s[0:1]
                                        ; implicit-def: $vgpr22
	s_andn2_saveexec_b64 s[0:1], s[20:21]
	s_cbranch_execz .LBB16_24
.LBB16_26:                              ;   in Loop: Header=BB16_22 Depth=2
	global_load_dwordx2 v[24:25], v[20:21], off offset:-4
	v_add_u32_e32 v23, v7, v22
	ds_write_b8 v23, v36
	v_lshl_add_u32 v37, v22, 3, v26
	s_waitcnt vmcnt(0)
	v_pk_mul_f32 v[22:23], v[24:25], s[6:7] op_sel:[1,0]
	v_pk_fma_f32 v[22:23], s[2:3], v[24:25], v[22:23] op_sel_hi:[1,0,1]
	ds_write_b64 v37, v[22:23]
	s_or_b64 exec, exec, s[0:1]
	s_mov_b64 s[20:21], -1
	s_and_saveexec_b64 s[0:1], vcc
	s_cbranch_execz .LBB16_21
.LBB16_27:                              ;   in Loop: Header=BB16_22 Depth=2
	v_add_co_u32_e32 v10, vcc, 32, v10
	v_addc_co_u32_e32 v11, vcc, 0, v11, vcc
	v_add_co_u32_e32 v18, vcc, 0x100, v18
	v_addc_co_u32_e32 v19, vcc, 0, v19, vcc
	;; [unrolled: 2-line block ×3, first 2 shown]
	v_cmp_ge_i64_e32 vcc, v[10:11], v[2:3]
	s_orn2_b64 s[20:21], vcc, exec
	s_branch .LBB16_21
.LBB16_28:                              ;   in Loop: Header=BB16_19 Depth=1
	s_or_b64 exec, exec, s[16:17]
.LBB16_29:                              ;   in Loop: Header=BB16_19 Depth=1
	s_or_b64 exec, exec, s[14:15]
	v_cmp_lt_i64_e32 vcc, v[12:13], v[4:5]
	s_waitcnt lgkmcnt(0)
	s_and_saveexec_b64 s[14:15], vcc
	s_cbranch_execz .LBB16_39
; %bb.30:                               ;   in Loop: Header=BB16_19 Depth=1
	v_lshlrev_b64 v[20:21], 3, v[12:13]
	v_mov_b32_e32 v19, s9
	v_add_co_u32_e32 v18, vcc, s8, v20
	v_addc_co_u32_e32 v19, vcc, v19, v21, vcc
	v_mov_b32_e32 v22, s36
	v_add_co_u32_e32 v20, vcc, s35, v20
	v_addc_co_u32_e32 v21, vcc, v22, v21, vcc
	s_mov_b64 s[16:17], 0
	s_branch .LBB16_32
.LBB16_31:                              ;   in Loop: Header=BB16_32 Depth=2
	s_or_b64 exec, exec, s[0:1]
	s_and_b64 s[0:1], exec, s[20:21]
	s_or_b64 s[16:17], s[0:1], s[16:17]
	s_andn2_b64 exec, exec, s[16:17]
	s_cbranch_execz .LBB16_38
.LBB16_32:                              ;   Parent Loop BB16_19 Depth=1
                                        ; =>  This Inner Loop Header: Depth=2
	global_load_dwordx2 v[22:23], v[18:19], off
	v_mov_b32_e32 v25, s22
	s_waitcnt vmcnt(0)
	v_subrev_co_u32_e32 v24, vcc, s29, v22
	v_subb_co_u32_e32 v25, vcc, v23, v25, vcc
	v_sub_co_u32_e32 v22, vcc, v24, v14
	v_subb_co_u32_e32 v23, vcc, v25, v15, vcc
	v_cmp_gt_i64_e32 vcc, 32, v[22:23]
	v_cmp_lt_i64_e64 s[0:1], 31, v[22:23]
	s_and_saveexec_b64 s[20:21], s[0:1]
	s_xor_b64 s[20:21], exec, s[20:21]
	s_cbranch_execnz .LBB16_35
; %bb.33:                               ;   in Loop: Header=BB16_32 Depth=2
	s_andn2_saveexec_b64 s[0:1], s[20:21]
	s_cbranch_execnz .LBB16_36
.LBB16_34:                              ;   in Loop: Header=BB16_32 Depth=2
	s_or_b64 exec, exec, s[0:1]
	s_mov_b64 s[20:21], -1
	s_and_saveexec_b64 s[0:1], vcc
	s_cbranch_execz .LBB16_31
	s_branch .LBB16_37
.LBB16_35:                              ;   in Loop: Header=BB16_32 Depth=2
	v_cmp_lt_i64_e64 s[0:1], v[24:25], v[16:17]
	v_cndmask_b32_e64 v17, v17, v25, s[0:1]
	v_cndmask_b32_e64 v16, v16, v24, s[0:1]
                                        ; implicit-def: $vgpr22
	s_andn2_saveexec_b64 s[0:1], s[20:21]
	s_cbranch_execz .LBB16_34
.LBB16_36:                              ;   in Loop: Header=BB16_32 Depth=2
	global_load_dwordx2 v[24:25], v[20:21], off offset:-4
	v_lshl_add_u32 v37, v22, 3, v26
	ds_read_b64 v[38:39], v37
	v_add_u32_e32 v22, v7, v22
	ds_write_b8 v22, v36
	s_waitcnt vmcnt(0) lgkmcnt(1)
	v_pk_fma_f32 v[22:23], s[4:5], v[24:25], v[38:39] op_sel_hi:[1,0,1]
	v_pk_fma_f32 v[22:23], s[12:13], v[24:25], v[22:23] op_sel:[0,1,0]
	ds_write_b64 v37, v[22:23]
	s_or_b64 exec, exec, s[0:1]
	s_mov_b64 s[20:21], -1
	s_and_saveexec_b64 s[0:1], vcc
	s_cbranch_execz .LBB16_31
.LBB16_37:                              ;   in Loop: Header=BB16_32 Depth=2
	v_add_co_u32_e32 v12, vcc, 32, v12
	v_addc_co_u32_e32 v13, vcc, 0, v13, vcc
	v_add_co_u32_e32 v18, vcc, 0x100, v18
	v_addc_co_u32_e32 v19, vcc, 0, v19, vcc
	;; [unrolled: 2-line block ×3, first 2 shown]
	v_cmp_ge_i64_e32 vcc, v[12:13], v[4:5]
	s_orn2_b64 s[20:21], vcc, exec
	s_branch .LBB16_31
.LBB16_38:                              ;   in Loop: Header=BB16_19 Depth=1
	s_or_b64 exec, exec, s[16:17]
.LBB16_39:                              ;   in Loop: Header=BB16_19 Depth=1
	s_or_b64 exec, exec, s[14:15]
	s_waitcnt lgkmcnt(0)
	ds_read_u8 v18, v35
	s_waitcnt lgkmcnt(0)
	v_and_b32_e32 v19, 1, v18
	v_cmp_eq_u32_e64 s[0:1], 1, v19
	v_cmp_ne_u16_e32 vcc, 0, v18
	s_and_saveexec_b64 s[14:15], s[0:1]
	s_cbranch_execz .LBB16_18
; %bb.40:                               ;   in Loop: Header=BB16_19 Depth=1
	v_and_b32_e32 v18, vcc_lo, v27
	v_add_co_u32_e64 v14, s[0:1], v28, v14
	v_bcnt_u32_b32 v18, v18, 0
	v_addc_co_u32_e64 v15, s[0:1], v29, v15, s[0:1]
	v_add_co_u32_e64 v18, s[0:1], v6, v18
	v_addc_co_u32_e64 v19, s[0:1], 0, v1, s[0:1]
	v_lshlrev_b64 v[18:19], 3, v[18:19]
	v_mov_b32_e32 v21, s31
	v_add_co_u32_e64 v20, s[0:1], s30, v18
	v_addc_co_u32_e64 v21, s[0:1], v21, v19, s[0:1]
	global_store_dwordx2 v[20:21], v[14:15], off
	ds_read_b64 v[14:15], v0
	v_mov_b32_e32 v20, s34
	v_add_co_u32_e64 v18, s[0:1], s33, v18
	v_addc_co_u32_e64 v19, s[0:1], v20, v19, s[0:1]
	s_waitcnt lgkmcnt(0)
	global_store_dwordx2 v[18:19], v[14:15], off
	s_branch .LBB16_18
.LBB16_41:
	s_endpgm
	.section	.rodata,"a",@progbits
	.p2align	6, 0x0
	.amdhsa_kernel _ZN9rocsparseL29csrgeam_fill_multipass_kernelILj256ELj32Ell21rocsparse_complex_numIfEEEvllNS_24const_host_device_scalarIT3_EEPKT1_PKT2_PKS4_S5_S8_SB_SD_S8_PS9_PS4_21rocsparse_index_base_SG_SG_bbb
		.amdhsa_group_segment_fixed_size 2304
		.amdhsa_private_segment_fixed_size 0
		.amdhsa_kernarg_size 120
		.amdhsa_user_sgpr_count 6
		.amdhsa_user_sgpr_private_segment_buffer 1
		.amdhsa_user_sgpr_dispatch_ptr 0
		.amdhsa_user_sgpr_queue_ptr 0
		.amdhsa_user_sgpr_kernarg_segment_ptr 1
		.amdhsa_user_sgpr_dispatch_id 0
		.amdhsa_user_sgpr_flat_scratch_init 0
		.amdhsa_user_sgpr_kernarg_preload_length 0
		.amdhsa_user_sgpr_kernarg_preload_offset 0
		.amdhsa_user_sgpr_private_segment_size 0
		.amdhsa_uses_dynamic_stack 0
		.amdhsa_system_sgpr_private_segment_wavefront_offset 0
		.amdhsa_system_sgpr_workgroup_id_x 1
		.amdhsa_system_sgpr_workgroup_id_y 0
		.amdhsa_system_sgpr_workgroup_id_z 0
		.amdhsa_system_sgpr_workgroup_info 0
		.amdhsa_system_vgpr_workitem_id 0
		.amdhsa_next_free_vgpr 40
		.amdhsa_next_free_sgpr 40
		.amdhsa_accum_offset 40
		.amdhsa_reserve_vcc 1
		.amdhsa_reserve_flat_scratch 0
		.amdhsa_float_round_mode_32 0
		.amdhsa_float_round_mode_16_64 0
		.amdhsa_float_denorm_mode_32 3
		.amdhsa_float_denorm_mode_16_64 3
		.amdhsa_dx10_clamp 1
		.amdhsa_ieee_mode 1
		.amdhsa_fp16_overflow 0
		.amdhsa_tg_split 0
		.amdhsa_exception_fp_ieee_invalid_op 0
		.amdhsa_exception_fp_denorm_src 0
		.amdhsa_exception_fp_ieee_div_zero 0
		.amdhsa_exception_fp_ieee_overflow 0
		.amdhsa_exception_fp_ieee_underflow 0
		.amdhsa_exception_fp_ieee_inexact 0
		.amdhsa_exception_int_div_zero 0
	.end_amdhsa_kernel
	.section	.text._ZN9rocsparseL29csrgeam_fill_multipass_kernelILj256ELj32Ell21rocsparse_complex_numIfEEEvllNS_24const_host_device_scalarIT3_EEPKT1_PKT2_PKS4_S5_S8_SB_SD_S8_PS9_PS4_21rocsparse_index_base_SG_SG_bbb,"axG",@progbits,_ZN9rocsparseL29csrgeam_fill_multipass_kernelILj256ELj32Ell21rocsparse_complex_numIfEEEvllNS_24const_host_device_scalarIT3_EEPKT1_PKT2_PKS4_S5_S8_SB_SD_S8_PS9_PS4_21rocsparse_index_base_SG_SG_bbb,comdat
.Lfunc_end16:
	.size	_ZN9rocsparseL29csrgeam_fill_multipass_kernelILj256ELj32Ell21rocsparse_complex_numIfEEEvllNS_24const_host_device_scalarIT3_EEPKT1_PKT2_PKS4_S5_S8_SB_SD_S8_PS9_PS4_21rocsparse_index_base_SG_SG_bbb, .Lfunc_end16-_ZN9rocsparseL29csrgeam_fill_multipass_kernelILj256ELj32Ell21rocsparse_complex_numIfEEEvllNS_24const_host_device_scalarIT3_EEPKT1_PKT2_PKS4_S5_S8_SB_SD_S8_PS9_PS4_21rocsparse_index_base_SG_SG_bbb
                                        ; -- End function
	.section	.AMDGPU.csdata,"",@progbits
; Kernel info:
; codeLenInByte = 1832
; NumSgprs: 44
; NumVgprs: 40
; NumAgprs: 0
; TotalNumVgprs: 40
; ScratchSize: 0
; MemoryBound: 0
; FloatMode: 240
; IeeeMode: 1
; LDSByteSize: 2304 bytes/workgroup (compile time only)
; SGPRBlocks: 5
; VGPRBlocks: 4
; NumSGPRsForWavesPerEU: 44
; NumVGPRsForWavesPerEU: 40
; AccumOffset: 40
; Occupancy: 8
; WaveLimiterHint : 1
; COMPUTE_PGM_RSRC2:SCRATCH_EN: 0
; COMPUTE_PGM_RSRC2:USER_SGPR: 6
; COMPUTE_PGM_RSRC2:TRAP_HANDLER: 0
; COMPUTE_PGM_RSRC2:TGID_X_EN: 1
; COMPUTE_PGM_RSRC2:TGID_Y_EN: 0
; COMPUTE_PGM_RSRC2:TGID_Z_EN: 0
; COMPUTE_PGM_RSRC2:TIDIG_COMP_CNT: 0
; COMPUTE_PGM_RSRC3_GFX90A:ACCUM_OFFSET: 9
; COMPUTE_PGM_RSRC3_GFX90A:TG_SPLIT: 0
	.section	.text._ZN9rocsparseL29csrgeam_fill_multipass_kernelILj256ELj64Ell21rocsparse_complex_numIfEEEvllNS_24const_host_device_scalarIT3_EEPKT1_PKT2_PKS4_S5_S8_SB_SD_S8_PS9_PS4_21rocsparse_index_base_SG_SG_bbb,"axG",@progbits,_ZN9rocsparseL29csrgeam_fill_multipass_kernelILj256ELj64Ell21rocsparse_complex_numIfEEEvllNS_24const_host_device_scalarIT3_EEPKT1_PKT2_PKS4_S5_S8_SB_SD_S8_PS9_PS4_21rocsparse_index_base_SG_SG_bbb,comdat
	.globl	_ZN9rocsparseL29csrgeam_fill_multipass_kernelILj256ELj64Ell21rocsparse_complex_numIfEEEvllNS_24const_host_device_scalarIT3_EEPKT1_PKT2_PKS4_S5_S8_SB_SD_S8_PS9_PS4_21rocsparse_index_base_SG_SG_bbb ; -- Begin function _ZN9rocsparseL29csrgeam_fill_multipass_kernelILj256ELj64Ell21rocsparse_complex_numIfEEEvllNS_24const_host_device_scalarIT3_EEPKT1_PKT2_PKS4_S5_S8_SB_SD_S8_PS9_PS4_21rocsparse_index_base_SG_SG_bbb
	.p2align	8
	.type	_ZN9rocsparseL29csrgeam_fill_multipass_kernelILj256ELj64Ell21rocsparse_complex_numIfEEEvllNS_24const_host_device_scalarIT3_EEPKT1_PKT2_PKS4_S5_S8_SB_SD_S8_PS9_PS4_21rocsparse_index_base_SG_SG_bbb,@function
_ZN9rocsparseL29csrgeam_fill_multipass_kernelILj256ELj64Ell21rocsparse_complex_numIfEEEvllNS_24const_host_device_scalarIT3_EEPKT1_PKT2_PKS4_S5_S8_SB_SD_S8_PS9_PS4_21rocsparse_index_base_SG_SG_bbb: ; @_ZN9rocsparseL29csrgeam_fill_multipass_kernelILj256ELj64Ell21rocsparse_complex_numIfEEEvllNS_24const_host_device_scalarIT3_EEPKT1_PKT2_PKS4_S5_S8_SB_SD_S8_PS9_PS4_21rocsparse_index_base_SG_SG_bbb
; %bb.0:
	s_load_dwordx8 s[8:15], s[4:5], 0x40
	s_load_dword s7, s[4:5], 0x74
	s_load_dwordx8 s[16:23], s[4:5], 0x0
	s_load_dwordx8 s[24:31], s[4:5], 0x20
	s_load_dwordx2 s[34:35], s[4:5], 0x60
	s_load_dwordx4 s[36:39], s[4:5], 0x68
	s_waitcnt lgkmcnt(0)
	s_bitcmp1_b32 s7, 16
	s_cselect_b64 s[0:1], -1, 0
	s_xor_b64 s[0:1], s[0:1], -1
	s_mov_b32 s3, 0
	v_cndmask_b32_e64 v1, 0, 1, s[0:1]
	s_bitcmp0_b32 s39, 0
	v_cmp_ne_u32_e64 s[0:1], 1, v1
	s_mov_b32 s2, s3
	s_cbranch_scc1 .LBB17_6
; %bb.1:
	s_and_b64 vcc, exec, s[0:1]
	s_mov_b32 s2, s20
	s_cbranch_vccnz .LBB17_3
; %bb.2:
	s_load_dword s2, s[20:21], 0x0
.LBB17_3:
	s_and_b64 vcc, exec, s[0:1]
	s_cbranch_vccnz .LBB17_5
; %bb.4:
	s_load_dword s21, s[20:21], 0x4
.LBB17_5:
	s_waitcnt lgkmcnt(0)
	s_mov_b32 s3, s21
.LBB17_6:
	s_mov_b32 s5, 0
	s_bfe_u32 s4, s7, 0x10008
	s_cmp_eq_u32 s4, 0
	s_mov_b32 s4, s5
	s_cbranch_scc1 .LBB17_12
; %bb.7:
	s_and_b64 vcc, exec, s[0:1]
	s_mov_b32 s4, s28
	s_cbranch_vccnz .LBB17_9
; %bb.8:
	s_load_dword s4, s[28:29], 0x0
.LBB17_9:
	s_and_b64 vcc, exec, s[0:1]
	s_cbranch_vccnz .LBB17_11
; %bb.10:
	s_load_dword s29, s[28:29], 0x4
.LBB17_11:
	s_waitcnt lgkmcnt(0)
	s_mov_b32 s5, s29
.LBB17_12:
	s_lshl_b32 s0, s6, 2
	v_lshrrev_b32_e32 v1, 6, v0
	s_and_b32 s0, s0, 0x3fffffc
	v_or_b32_e32 v2, s0, v1
	v_mov_b32_e32 v3, 0
	v_cmp_gt_i64_e32 vcc, s[16:17], v[2:3]
	s_and_saveexec_b64 s[0:1], vcc
	s_cbranch_execz .LBB17_41
; %bb.13:
	v_lshlrev_b32_e32 v1, 3, v2
	global_load_dwordx4 v[2:5], v1, s[22:23]
	global_load_dwordx4 v[6:9], v1, s[30:31]
	global_load_dwordx2 v[12:13], v1, s[12:13]
	s_mov_b32 s22, 0
	s_mov_b32 s23, s36
	;; [unrolled: 1-line block ×3, first 2 shown]
	v_pk_mov_b32 v[14:15], s[18:19], s[18:19] op_sel:[0,1]
	s_waitcnt vmcnt(2)
	v_subrev_co_u32_e32 v10, vcc, s36, v2
	v_subbrev_co_u32_e32 v11, vcc, 0, v3, vcc
	v_cmp_lt_i64_e32 vcc, v[2:3], v[4:5]
	s_and_saveexec_b64 s[0:1], vcc
	s_cbranch_execz .LBB17_15
; %bb.14:
	v_lshlrev_b64 v[2:3], 3, v[10:11]
	v_mov_b32_e32 v1, s25
	v_add_co_u32_e32 v2, vcc, s24, v2
	v_addc_co_u32_e32 v3, vcc, v1, v3, vcc
	global_load_dwordx2 v[2:3], v[2:3], off
	v_mov_b32_e32 v1, s28
	s_waitcnt vmcnt(0)
	v_subrev_co_u32_e32 v14, vcc, s23, v2
	v_subb_co_u32_e32 v15, vcc, v3, v1, vcc
.LBB17_15:
	s_or_b64 exec, exec, s[0:1]
	s_waitcnt vmcnt(1)
	v_subrev_co_u32_e32 v18, vcc, s37, v6
	v_subbrev_co_u32_e32 v19, vcc, 0, v7, vcc
	s_mov_b32 s29, s37
	v_cmp_lt_i64_e32 vcc, v[6:7], v[8:9]
	v_pk_mov_b32 v[16:17], s[18:19], s[18:19] op_sel:[0,1]
	s_and_saveexec_b64 s[0:1], vcc
	s_cbranch_execz .LBB17_17
; %bb.16:
	v_lshlrev_b64 v[2:3], 3, v[18:19]
	v_mov_b32_e32 v1, s9
	v_add_co_u32_e32 v2, vcc, s8, v2
	v_addc_co_u32_e32 v3, vcc, v1, v3, vcc
	global_load_dwordx2 v[2:3], v[2:3], off
	v_mov_b32_e32 v1, s22
	s_waitcnt vmcnt(0)
	v_subrev_co_u32_e32 v16, vcc, s29, v2
	v_subb_co_u32_e32 v17, vcc, v3, v1, vcc
.LBB17_17:
	s_or_b64 exec, exec, s[0:1]
	v_and_b32_e32 v1, 0xc0, v0
	v_or_b32_e32 v7, 0x800, v1
	v_lshlrev_b32_e32 v28, 3, v1
	v_mov_b32_e32 v1, s28
	v_subrev_co_u32_e32 v2, vcc, s23, v4
	v_subb_co_u32_e32 v3, vcc, v5, v1, vcc
	v_mov_b32_e32 v1, s22
	v_subrev_co_u32_e32 v4, vcc, s29, v8
	v_subb_co_u32_e32 v5, vcc, v9, v1, vcc
	s_waitcnt vmcnt(0)
	v_subrev_co_u32_e32 v6, vcc, s38, v12
	v_subbrev_co_u32_e32 v1, vcc, 0, v13, vcc
	v_and_b32_e32 v9, 63, v0
	v_cmp_lt_i64_e32 vcc, v[16:17], v[14:15]
	v_cndmask_b32_e32 v17, v15, v17, vcc
	v_cndmask_b32_e32 v16, v14, v16, vcc
	v_add_co_u32_e32 v10, vcc, v10, v9
	v_addc_co_u32_e32 v11, vcc, 0, v11, vcc
	v_mbcnt_lo_u32_b32 v14, -1, 0
	v_add_co_u32_e32 v12, vcc, v18, v9
	v_mbcnt_hi_u32_b32 v18, -1, v14
	v_addc_co_u32_e32 v13, vcc, 0, v19, vcc
	v_and_b32_e32 v14, 64, v18
	v_add_u32_e32 v19, 64, v14
	v_add_co_u32_e32 v29, vcc, s38, v9
	v_xor_b32_e32 v20, 32, v18
	v_addc_co_u32_e64 v30, s[0:1], 0, 0, vcc
	v_cmp_lt_i32_e32 vcc, v20, v19
	v_cndmask_b32_e32 v20, v18, v20, vcc
	v_lshlrev_b32_e32 v31, 2, v20
	v_xor_b32_e32 v20, 16, v18
	v_cmp_lt_i32_e32 vcc, v20, v19
	v_cndmask_b32_e32 v20, v18, v20, vcc
	v_lshlrev_b32_e32 v32, 2, v20
	v_xor_b32_e32 v20, 8, v18
	;; [unrolled: 4-line block ×3, first 2 shown]
	s_xor_b32 s6, s3, 0x80000000
	s_xor_b32 s12, s5, 0x80000000
	v_cmp_lt_i32_e32 vcc, v20, v19
	v_cndmask_b32_e32 v20, v18, v20, vcc
	s_add_u32 s30, s14, -8
	v_lshlrev_b32_e32 v34, 2, v20
	v_xor_b32_e32 v20, 2, v18
	s_addc_u32 s31, s15, -1
	v_cmp_lt_i32_e32 vcc, v20, v19
	s_add_u32 s33, s34, -8
	v_cndmask_b32_e32 v20, v18, v20, vcc
	s_addc_u32 s34, s35, -1
	v_lshlrev_b32_e32 v35, 2, v20
	v_xor_b32_e32 v20, 1, v18
	s_add_u32 s26, s26, 4
	v_cmp_lt_i32_e32 vcc, v20, v19
	s_addc_u32 s27, s27, 0
	v_mov_b32_e32 v8, 0
	v_xor_b32_e32 v14, 63, v9
	v_cndmask_b32_e32 v18, v18, v20, vcc
	s_add_u32 s35, s10, 4
	v_lshl_or_b32 v0, v9, 3, v28
	v_lshrrev_b64 v[14:15], v14, -1
	v_lshlrev_b32_e32 v36, 2, v18
	s_mov_b32 s7, s2
	s_mov_b32 s13, s4
	s_addc_u32 s36, s11, 0
	s_mov_b64 s[10:11], 0
	v_add_u32_e32 v37, v7, v9
	v_mov_b32_e32 v9, v8
	v_mov_b32_e32 v38, 1
	s_branch .LBB17_19
.LBB17_18:                              ;   in Loop: Header=BB17_19 Depth=1
	s_or_b64 exec, exec, s[14:15]
	ds_bpermute_b32 v16, v31, v18
	ds_bpermute_b32 v17, v31, v19
	s_waitcnt lgkmcnt(0)
	v_cmp_lt_i64_e64 s[0:1], v[16:17], v[18:19]
	v_cndmask_b32_e64 v17, v19, v17, s[0:1]
	v_cndmask_b32_e64 v16, v18, v16, s[0:1]
	ds_bpermute_b32 v19, v32, v17
	ds_bpermute_b32 v18, v32, v16
	s_waitcnt lgkmcnt(0)
	v_cmp_lt_i64_e64 s[0:1], v[18:19], v[16:17]
	v_cndmask_b32_e64 v17, v17, v19, s[0:1]
	v_cndmask_b32_e64 v16, v16, v18, s[0:1]
	;; [unrolled: 6-line block ×5, first 2 shown]
	ds_bpermute_b32 v19, v36, v17
	ds_bpermute_b32 v18, v36, v16
	s_bcnt1_i32_b64 s0, vcc
	s_waitcnt lgkmcnt(0)
	v_cmp_lt_i64_e32 vcc, v[18:19], v[16:17]
	v_cndmask_b32_e32 v17, v17, v19, vcc
	v_cndmask_b32_e32 v16, v16, v18, vcc
	v_cmp_le_i64_e32 vcc, s[18:19], v[16:17]
	s_or_b64 s[10:11], vcc, s[10:11]
	v_add_co_u32_e32 v6, vcc, s0, v6
	v_addc_co_u32_e32 v1, vcc, 0, v1, vcc
	s_andn2_b64 exec, exec, s[10:11]
	s_cbranch_execz .LBB17_41
.LBB17_19:                              ; =>This Loop Header: Depth=1
                                        ;     Child Loop BB17_22 Depth 2
                                        ;     Child Loop BB17_32 Depth 2
	v_cmp_lt_i64_e32 vcc, v[10:11], v[2:3]
	v_pk_mov_b32 v[18:19], s[18:19], s[18:19] op_sel:[0,1]
	ds_write_b8 v37, v8
	ds_write_b64 v0, v[8:9]
	s_waitcnt lgkmcnt(0)
	s_and_saveexec_b64 s[14:15], vcc
	s_cbranch_execz .LBB17_29
; %bb.20:                               ;   in Loop: Header=BB17_19 Depth=1
	v_lshlrev_b64 v[18:19], 3, v[10:11]
	v_mov_b32_e32 v21, s25
	v_add_co_u32_e32 v20, vcc, s24, v18
	v_addc_co_u32_e32 v21, vcc, v21, v19, vcc
	v_mov_b32_e32 v23, s27
	v_add_co_u32_e32 v22, vcc, s26, v18
	v_addc_co_u32_e32 v23, vcc, v23, v19, vcc
	s_mov_b64 s[16:17], 0
	v_pk_mov_b32 v[18:19], s[18:19], s[18:19] op_sel:[0,1]
	s_branch .LBB17_22
.LBB17_21:                              ;   in Loop: Header=BB17_22 Depth=2
	s_or_b64 exec, exec, s[0:1]
	s_and_b64 s[0:1], exec, s[20:21]
	s_or_b64 s[16:17], s[0:1], s[16:17]
	s_andn2_b64 exec, exec, s[16:17]
	s_cbranch_execz .LBB17_28
.LBB17_22:                              ;   Parent Loop BB17_19 Depth=1
                                        ; =>  This Inner Loop Header: Depth=2
	global_load_dwordx2 v[24:25], v[20:21], off
	v_mov_b32_e32 v27, s28
	s_waitcnt vmcnt(0)
	v_subrev_co_u32_e32 v26, vcc, s23, v24
	v_subb_co_u32_e32 v27, vcc, v25, v27, vcc
	v_sub_co_u32_e32 v24, vcc, v26, v16
	v_subb_co_u32_e32 v25, vcc, v27, v17, vcc
	v_cmp_gt_i64_e32 vcc, 64, v[24:25]
	v_cmp_lt_i64_e64 s[0:1], 63, v[24:25]
	s_and_saveexec_b64 s[20:21], s[0:1]
	s_xor_b64 s[20:21], exec, s[20:21]
	s_cbranch_execnz .LBB17_25
; %bb.23:                               ;   in Loop: Header=BB17_22 Depth=2
	s_andn2_saveexec_b64 s[0:1], s[20:21]
	s_cbranch_execnz .LBB17_26
.LBB17_24:                              ;   in Loop: Header=BB17_22 Depth=2
	s_or_b64 exec, exec, s[0:1]
	s_mov_b64 s[20:21], -1
	s_and_saveexec_b64 s[0:1], vcc
	s_cbranch_execz .LBB17_21
	s_branch .LBB17_27
.LBB17_25:                              ;   in Loop: Header=BB17_22 Depth=2
	v_cmp_lt_i64_e64 s[0:1], v[26:27], v[18:19]
	v_cndmask_b32_e64 v19, v19, v27, s[0:1]
	v_cndmask_b32_e64 v18, v18, v26, s[0:1]
                                        ; implicit-def: $vgpr24
	s_andn2_saveexec_b64 s[0:1], s[20:21]
	s_cbranch_execz .LBB17_24
.LBB17_26:                              ;   in Loop: Header=BB17_22 Depth=2
	global_load_dwordx2 v[26:27], v[22:23], off offset:-4
	v_add_u32_e32 v25, v7, v24
	ds_write_b8 v25, v38
	v_lshl_add_u32 v39, v24, 3, v28
	s_waitcnt vmcnt(0)
	v_pk_mul_f32 v[24:25], v[26:27], s[6:7] op_sel:[1,0]
	v_pk_fma_f32 v[24:25], s[2:3], v[26:27], v[24:25] op_sel_hi:[1,0,1]
	ds_write_b64 v39, v[24:25]
	s_or_b64 exec, exec, s[0:1]
	s_mov_b64 s[20:21], -1
	s_and_saveexec_b64 s[0:1], vcc
	s_cbranch_execz .LBB17_21
.LBB17_27:                              ;   in Loop: Header=BB17_22 Depth=2
	v_add_co_u32_e32 v10, vcc, 64, v10
	v_addc_co_u32_e32 v11, vcc, 0, v11, vcc
	v_add_co_u32_e32 v20, vcc, 0x200, v20
	v_addc_co_u32_e32 v21, vcc, 0, v21, vcc
	;; [unrolled: 2-line block ×3, first 2 shown]
	v_cmp_ge_i64_e32 vcc, v[10:11], v[2:3]
	s_orn2_b64 s[20:21], vcc, exec
	s_branch .LBB17_21
.LBB17_28:                              ;   in Loop: Header=BB17_19 Depth=1
	s_or_b64 exec, exec, s[16:17]
.LBB17_29:                              ;   in Loop: Header=BB17_19 Depth=1
	s_or_b64 exec, exec, s[14:15]
	v_cmp_lt_i64_e32 vcc, v[12:13], v[4:5]
	s_waitcnt lgkmcnt(0)
	s_and_saveexec_b64 s[14:15], vcc
	s_cbranch_execz .LBB17_39
; %bb.30:                               ;   in Loop: Header=BB17_19 Depth=1
	v_lshlrev_b64 v[22:23], 3, v[12:13]
	v_mov_b32_e32 v21, s9
	v_add_co_u32_e32 v20, vcc, s8, v22
	v_addc_co_u32_e32 v21, vcc, v21, v23, vcc
	v_mov_b32_e32 v24, s36
	v_add_co_u32_e32 v22, vcc, s35, v22
	v_addc_co_u32_e32 v23, vcc, v24, v23, vcc
	s_mov_b64 s[16:17], 0
	s_branch .LBB17_32
.LBB17_31:                              ;   in Loop: Header=BB17_32 Depth=2
	s_or_b64 exec, exec, s[0:1]
	s_and_b64 s[0:1], exec, s[20:21]
	s_or_b64 s[16:17], s[0:1], s[16:17]
	s_andn2_b64 exec, exec, s[16:17]
	s_cbranch_execz .LBB17_38
.LBB17_32:                              ;   Parent Loop BB17_19 Depth=1
                                        ; =>  This Inner Loop Header: Depth=2
	global_load_dwordx2 v[24:25], v[20:21], off
	v_mov_b32_e32 v27, s22
	s_waitcnt vmcnt(0)
	v_subrev_co_u32_e32 v26, vcc, s29, v24
	v_subb_co_u32_e32 v27, vcc, v25, v27, vcc
	v_sub_co_u32_e32 v24, vcc, v26, v16
	v_subb_co_u32_e32 v25, vcc, v27, v17, vcc
	v_cmp_gt_i64_e32 vcc, 64, v[24:25]
	v_cmp_lt_i64_e64 s[0:1], 63, v[24:25]
	s_and_saveexec_b64 s[20:21], s[0:1]
	s_xor_b64 s[20:21], exec, s[20:21]
	s_cbranch_execnz .LBB17_35
; %bb.33:                               ;   in Loop: Header=BB17_32 Depth=2
	s_andn2_saveexec_b64 s[0:1], s[20:21]
	s_cbranch_execnz .LBB17_36
.LBB17_34:                              ;   in Loop: Header=BB17_32 Depth=2
	s_or_b64 exec, exec, s[0:1]
	s_mov_b64 s[20:21], -1
	s_and_saveexec_b64 s[0:1], vcc
	s_cbranch_execz .LBB17_31
	s_branch .LBB17_37
.LBB17_35:                              ;   in Loop: Header=BB17_32 Depth=2
	v_cmp_lt_i64_e64 s[0:1], v[26:27], v[18:19]
	v_cndmask_b32_e64 v19, v19, v27, s[0:1]
	v_cndmask_b32_e64 v18, v18, v26, s[0:1]
                                        ; implicit-def: $vgpr24
	s_andn2_saveexec_b64 s[0:1], s[20:21]
	s_cbranch_execz .LBB17_34
.LBB17_36:                              ;   in Loop: Header=BB17_32 Depth=2
	global_load_dwordx2 v[26:27], v[22:23], off offset:-4
	v_lshl_add_u32 v39, v24, 3, v28
	ds_read_b64 v[40:41], v39
	v_add_u32_e32 v24, v7, v24
	ds_write_b8 v24, v38
	s_waitcnt vmcnt(0) lgkmcnt(1)
	v_pk_fma_f32 v[24:25], s[4:5], v[26:27], v[40:41] op_sel_hi:[1,0,1]
	v_pk_fma_f32 v[24:25], s[12:13], v[26:27], v[24:25] op_sel:[0,1,0]
	ds_write_b64 v39, v[24:25]
	s_or_b64 exec, exec, s[0:1]
	s_mov_b64 s[20:21], -1
	s_and_saveexec_b64 s[0:1], vcc
	s_cbranch_execz .LBB17_31
.LBB17_37:                              ;   in Loop: Header=BB17_32 Depth=2
	v_add_co_u32_e32 v12, vcc, 64, v12
	v_addc_co_u32_e32 v13, vcc, 0, v13, vcc
	v_add_co_u32_e32 v20, vcc, 0x200, v20
	v_addc_co_u32_e32 v21, vcc, 0, v21, vcc
	;; [unrolled: 2-line block ×3, first 2 shown]
	v_cmp_ge_i64_e32 vcc, v[12:13], v[4:5]
	s_orn2_b64 s[20:21], vcc, exec
	s_branch .LBB17_31
.LBB17_38:                              ;   in Loop: Header=BB17_19 Depth=1
	s_or_b64 exec, exec, s[16:17]
.LBB17_39:                              ;   in Loop: Header=BB17_19 Depth=1
	s_or_b64 exec, exec, s[14:15]
	s_waitcnt lgkmcnt(0)
	ds_read_u8 v20, v37
	s_waitcnt lgkmcnt(0)
	v_and_b32_e32 v21, 1, v20
	v_cmp_eq_u32_e64 s[0:1], 1, v21
	v_cmp_ne_u16_e32 vcc, 0, v20
	s_and_saveexec_b64 s[14:15], s[0:1]
	s_cbranch_execz .LBB17_18
; %bb.40:                               ;   in Loop: Header=BB17_19 Depth=1
	v_and_b32_e32 v21, vcc_lo, v14
	v_and_b32_e32 v20, vcc_hi, v15
	v_bcnt_u32_b32 v21, v21, 0
	v_add_co_u32_e64 v16, s[0:1], v29, v16
	v_bcnt_u32_b32 v20, v20, v21
	v_addc_co_u32_e64 v17, s[0:1], v30, v17, s[0:1]
	v_add_co_u32_e64 v20, s[0:1], v6, v20
	v_addc_co_u32_e64 v21, s[0:1], 0, v1, s[0:1]
	v_lshlrev_b64 v[20:21], 3, v[20:21]
	v_mov_b32_e32 v23, s31
	v_add_co_u32_e64 v22, s[0:1], s30, v20
	v_addc_co_u32_e64 v23, s[0:1], v23, v21, s[0:1]
	global_store_dwordx2 v[22:23], v[16:17], off
	ds_read_b64 v[16:17], v0
	v_mov_b32_e32 v22, s34
	v_add_co_u32_e64 v20, s[0:1], s33, v20
	v_addc_co_u32_e64 v21, s[0:1], v22, v21, s[0:1]
	s_waitcnt lgkmcnt(0)
	global_store_dwordx2 v[20:21], v[16:17], off
	s_branch .LBB17_18
.LBB17_41:
	s_endpgm
	.section	.rodata,"a",@progbits
	.p2align	6, 0x0
	.amdhsa_kernel _ZN9rocsparseL29csrgeam_fill_multipass_kernelILj256ELj64Ell21rocsparse_complex_numIfEEEvllNS_24const_host_device_scalarIT3_EEPKT1_PKT2_PKS4_S5_S8_SB_SD_S8_PS9_PS4_21rocsparse_index_base_SG_SG_bbb
		.amdhsa_group_segment_fixed_size 2304
		.amdhsa_private_segment_fixed_size 0
		.amdhsa_kernarg_size 120
		.amdhsa_user_sgpr_count 6
		.amdhsa_user_sgpr_private_segment_buffer 1
		.amdhsa_user_sgpr_dispatch_ptr 0
		.amdhsa_user_sgpr_queue_ptr 0
		.amdhsa_user_sgpr_kernarg_segment_ptr 1
		.amdhsa_user_sgpr_dispatch_id 0
		.amdhsa_user_sgpr_flat_scratch_init 0
		.amdhsa_user_sgpr_kernarg_preload_length 0
		.amdhsa_user_sgpr_kernarg_preload_offset 0
		.amdhsa_user_sgpr_private_segment_size 0
		.amdhsa_uses_dynamic_stack 0
		.amdhsa_system_sgpr_private_segment_wavefront_offset 0
		.amdhsa_system_sgpr_workgroup_id_x 1
		.amdhsa_system_sgpr_workgroup_id_y 0
		.amdhsa_system_sgpr_workgroup_id_z 0
		.amdhsa_system_sgpr_workgroup_info 0
		.amdhsa_system_vgpr_workitem_id 0
		.amdhsa_next_free_vgpr 42
		.amdhsa_next_free_sgpr 40
		.amdhsa_accum_offset 44
		.amdhsa_reserve_vcc 1
		.amdhsa_reserve_flat_scratch 0
		.amdhsa_float_round_mode_32 0
		.amdhsa_float_round_mode_16_64 0
		.amdhsa_float_denorm_mode_32 3
		.amdhsa_float_denorm_mode_16_64 3
		.amdhsa_dx10_clamp 1
		.amdhsa_ieee_mode 1
		.amdhsa_fp16_overflow 0
		.amdhsa_tg_split 0
		.amdhsa_exception_fp_ieee_invalid_op 0
		.amdhsa_exception_fp_denorm_src 0
		.amdhsa_exception_fp_ieee_div_zero 0
		.amdhsa_exception_fp_ieee_overflow 0
		.amdhsa_exception_fp_ieee_underflow 0
		.amdhsa_exception_fp_ieee_inexact 0
		.amdhsa_exception_int_div_zero 0
	.end_amdhsa_kernel
	.section	.text._ZN9rocsparseL29csrgeam_fill_multipass_kernelILj256ELj64Ell21rocsparse_complex_numIfEEEvllNS_24const_host_device_scalarIT3_EEPKT1_PKT2_PKS4_S5_S8_SB_SD_S8_PS9_PS4_21rocsparse_index_base_SG_SG_bbb,"axG",@progbits,_ZN9rocsparseL29csrgeam_fill_multipass_kernelILj256ELj64Ell21rocsparse_complex_numIfEEEvllNS_24const_host_device_scalarIT3_EEPKT1_PKT2_PKS4_S5_S8_SB_SD_S8_PS9_PS4_21rocsparse_index_base_SG_SG_bbb,comdat
.Lfunc_end17:
	.size	_ZN9rocsparseL29csrgeam_fill_multipass_kernelILj256ELj64Ell21rocsparse_complex_numIfEEEvllNS_24const_host_device_scalarIT3_EEPKT1_PKT2_PKS4_S5_S8_SB_SD_S8_PS9_PS4_21rocsparse_index_base_SG_SG_bbb, .Lfunc_end17-_ZN9rocsparseL29csrgeam_fill_multipass_kernelILj256ELj64Ell21rocsparse_complex_numIfEEEvllNS_24const_host_device_scalarIT3_EEPKT1_PKT2_PKS4_S5_S8_SB_SD_S8_PS9_PS4_21rocsparse_index_base_SG_SG_bbb
                                        ; -- End function
	.section	.AMDGPU.csdata,"",@progbits
; Kernel info:
; codeLenInByte = 1904
; NumSgprs: 44
; NumVgprs: 42
; NumAgprs: 0
; TotalNumVgprs: 42
; ScratchSize: 0
; MemoryBound: 0
; FloatMode: 240
; IeeeMode: 1
; LDSByteSize: 2304 bytes/workgroup (compile time only)
; SGPRBlocks: 5
; VGPRBlocks: 5
; NumSGPRsForWavesPerEU: 44
; NumVGPRsForWavesPerEU: 42
; AccumOffset: 44
; Occupancy: 8
; WaveLimiterHint : 1
; COMPUTE_PGM_RSRC2:SCRATCH_EN: 0
; COMPUTE_PGM_RSRC2:USER_SGPR: 6
; COMPUTE_PGM_RSRC2:TRAP_HANDLER: 0
; COMPUTE_PGM_RSRC2:TGID_X_EN: 1
; COMPUTE_PGM_RSRC2:TGID_Y_EN: 0
; COMPUTE_PGM_RSRC2:TGID_Z_EN: 0
; COMPUTE_PGM_RSRC2:TIDIG_COMP_CNT: 0
; COMPUTE_PGM_RSRC3_GFX90A:ACCUM_OFFSET: 10
; COMPUTE_PGM_RSRC3_GFX90A:TG_SPLIT: 0
	.section	.text._ZN9rocsparseL29csrgeam_fill_multipass_kernelILj256ELj32Eii21rocsparse_complex_numIdEEEvllNS_24const_host_device_scalarIT3_EEPKT1_PKT2_PKS4_S5_S8_SB_SD_S8_PS9_PS4_21rocsparse_index_base_SG_SG_bbb,"axG",@progbits,_ZN9rocsparseL29csrgeam_fill_multipass_kernelILj256ELj32Eii21rocsparse_complex_numIdEEEvllNS_24const_host_device_scalarIT3_EEPKT1_PKT2_PKS4_S5_S8_SB_SD_S8_PS9_PS4_21rocsparse_index_base_SG_SG_bbb,comdat
	.globl	_ZN9rocsparseL29csrgeam_fill_multipass_kernelILj256ELj32Eii21rocsparse_complex_numIdEEEvllNS_24const_host_device_scalarIT3_EEPKT1_PKT2_PKS4_S5_S8_SB_SD_S8_PS9_PS4_21rocsparse_index_base_SG_SG_bbb ; -- Begin function _ZN9rocsparseL29csrgeam_fill_multipass_kernelILj256ELj32Eii21rocsparse_complex_numIdEEEvllNS_24const_host_device_scalarIT3_EEPKT1_PKT2_PKS4_S5_S8_SB_SD_S8_PS9_PS4_21rocsparse_index_base_SG_SG_bbb
	.p2align	8
	.type	_ZN9rocsparseL29csrgeam_fill_multipass_kernelILj256ELj32Eii21rocsparse_complex_numIdEEEvllNS_24const_host_device_scalarIT3_EEPKT1_PKT2_PKS4_S5_S8_SB_SD_S8_PS9_PS4_21rocsparse_index_base_SG_SG_bbb,@function
_ZN9rocsparseL29csrgeam_fill_multipass_kernelILj256ELj32Eii21rocsparse_complex_numIdEEEvllNS_24const_host_device_scalarIT3_EEPKT1_PKT2_PKS4_S5_S8_SB_SD_S8_PS9_PS4_21rocsparse_index_base_SG_SG_bbb: ; @_ZN9rocsparseL29csrgeam_fill_multipass_kernelILj256ELj32Eii21rocsparse_complex_numIdEEEvllNS_24const_host_device_scalarIT3_EEPKT1_PKT2_PKS4_S5_S8_SB_SD_S8_PS9_PS4_21rocsparse_index_base_SG_SG_bbb
; %bb.0:
	s_add_u32 flat_scratch_lo, s8, s11
	s_addc_u32 flat_scratch_hi, s9, 0
	s_add_u32 s0, s0, s11
	s_load_dword s11, s[6:7], 0x84
	s_load_dwordx8 s[12:19], s[6:7], 0x0
	s_load_dwordx2 s[8:9], s[4:5], 0x4
	s_load_dwordx4 s[24:27], s[6:7], 0x38
	s_load_dwordx4 s[20:23], s[6:7], 0x78
	s_addc_u32 s1, s1, 0
	s_waitcnt lgkmcnt(0)
	s_bitcmp1_b32 s11, 16
	s_cselect_b64 s[4:5], -1, 0
	s_lshr_b32 s8, s8, 16
	v_and_b32_e32 v16, 0x3ff, v0
	s_mul_i32 s8, s8, s9
	v_mul_lo_u32 v1, s8, v16
	v_bfe_u32 v2, v0, 10, 10
	v_mad_u32_u24 v1, v2, s9, v1
	v_bfe_u32 v0, v0, 20, 10
	v_add_lshl_u32 v0, v1, v0, 3
	v_mov_b32_e32 v1, s25
	buffer_store_dword v1, off, s[0:3], 0 offset:4
	v_mov_b32_e32 v1, s24
	s_xor_b64 s[8:9], s[4:5], -1
	buffer_store_dword v1, off, s[0:3], 0
	v_pk_mov_b32 v[6:7], 0, 0
	v_cndmask_b32_e64 v1, 0, 1, s[8:9]
	v_pk_mov_b32 v[2:3], s[16:17], s[16:17] op_sel:[0,1]
	s_bitcmp0_b32 s23, 0
	v_cmp_ne_u32_e64 s[8:9], 1, v1
	v_pk_mov_b32 v[4:5], v[6:7], v[6:7] op_sel:[0,1]
	v_pk_mov_b32 v[8:9], v[6:7], v[6:7] op_sel:[0,1]
	ds_write_b64 v0, v[2:3] offset:4352
	s_cbranch_scc1 .LBB18_3
; %bb.1:
	s_mov_b64 s[28:29], src_shared_base
	s_and_b64 s[30:31], s[4:5], exec
	v_add_u32_e32 v0, 0x1100, v0
	s_cselect_b32 s23, s29, s17
	v_mov_b32_e32 v1, s16
	v_cndmask_b32_e64 v0, v1, v0, s[4:5]
	v_mov_b32_e32 v1, s23
	flat_load_dwordx2 v[4:5], v[0:1]
	s_and_b64 vcc, exec, s[8:9]
	v_pk_mov_b32 v[8:9], s[18:19], s[18:19] op_sel:[0,1]
	s_cbranch_vccnz .LBB18_3
; %bb.2:
	v_pk_mov_b32 v[0:1], s[16:17], s[16:17] op_sel:[0,1]
	flat_load_dwordx2 v[8:9], v[0:1] offset:8
.LBB18_3:
	s_bfe_u32 s11, s11, 0x10008
	s_cmp_eq_u32 s11, 0
	v_pk_mov_b32 v[10:11], v[6:7], v[6:7] op_sel:[0,1]
	s_cbranch_scc1 .LBB18_6
; %bb.4:
	s_mov_b64 s[16:17], src_private_base
	s_and_b64 s[18:19], s[4:5], exec
	s_cselect_b32 s11, s17, s25
	v_mov_b32_e32 v0, 0
	v_mov_b32_e32 v1, s24
	v_cndmask_b32_e64 v0, v1, v0, s[4:5]
	v_mov_b32_e32 v1, s11
	flat_load_dwordx2 v[10:11], v[0:1]
	s_and_b64 vcc, exec, s[8:9]
	v_pk_mov_b32 v[6:7], s[26:27], s[26:27] op_sel:[0,1]
	s_cbranch_vccnz .LBB18_6
; %bb.5:
	v_pk_mov_b32 v[0:1], s[24:25], s[24:25] op_sel:[0,1]
	flat_load_dwordx2 v[6:7], v[0:1] offset:8
.LBB18_6:
	s_lshl_b32 s4, s10, 3
	v_lshrrev_b32_e32 v0, 5, v16
	s_and_b32 s4, s4, 0x7fffff8
	v_or_b32_e32 v0, s4, v0
	v_mov_b32_e32 v1, 0
	v_cmp_gt_i64_e32 vcc, s[12:13], v[0:1]
	s_and_saveexec_b64 s[4:5], vcc
	s_cbranch_execz .LBB18_35
; %bb.7:
	s_load_dwordx4 s[8:11], s[6:7], 0x20
	s_load_dwordx2 s[4:5], s[6:7], 0x48
	s_load_dwordx2 s[12:13], s[6:7], 0x60
	v_lshlrev_b32_e32 v12, 2, v0
	s_waitcnt lgkmcnt(0)
	global_load_dwordx2 v[2:3], v12, s[8:9]
	global_load_dwordx2 v[0:1], v12, s[4:5]
	global_load_dword v17, v12, s[12:13]
	s_waitcnt vmcnt(0)
	v_cmp_ge_i32_e32 vcc, v2, v3
	s_and_saveexec_b64 s[4:5], vcc
	s_xor_b64 s[4:5], exec, s[4:5]
	s_or_saveexec_b64 s[4:5], s[4:5]
	v_subrev_u32_e32 v12, s20, v2
	v_mov_b32_e32 v2, s14
	s_xor_b64 exec, exec, s[4:5]
	s_cbranch_execz .LBB18_9
; %bb.8:
	v_ashrrev_i32_e32 v13, 31, v12
	v_lshlrev_b64 v[14:15], 2, v[12:13]
	v_mov_b32_e32 v2, s11
	v_add_co_u32_e32 v14, vcc, s10, v14
	v_addc_co_u32_e32 v15, vcc, v2, v15, vcc
	global_load_dword v2, v[14:15], off
	s_waitcnt vmcnt(0)
	v_subrev_u32_e32 v2, s20, v2
.LBB18_9:
	s_or_b64 exec, exec, s[4:5]
	s_load_dwordx2 s[8:9], s[6:7], 0x50
	v_cmp_ge_i32_e32 vcc, v0, v1
	s_and_saveexec_b64 s[4:5], vcc
	s_xor_b64 s[4:5], exec, s[4:5]
	s_or_saveexec_b64 s[4:5], s[4:5]
	s_load_dwordx4 s[16:19], s[6:7], 0x68
	s_load_dwordx2 s[12:13], s[6:7], 0x58
	s_load_dwordx2 s[24:25], s[6:7], 0x30
	v_subrev_u32_e32 v14, s21, v0
	v_mov_b32_e32 v20, s14
	v_mov_b32_e32 v0, s14
	s_xor_b64 exec, exec, s[4:5]
	s_cbranch_execz .LBB18_11
; %bb.10:
	v_ashrrev_i32_e32 v15, 31, v14
	v_lshlrev_b64 v[18:19], 2, v[14:15]
	s_waitcnt lgkmcnt(0)
	v_mov_b32_e32 v0, s9
	v_add_co_u32_e32 v18, vcc, s8, v18
	v_addc_co_u32_e32 v19, vcc, v0, v19, vcc
	global_load_dword v0, v[18:19], off
	v_mov_b32_e32 v20, s14
	s_waitcnt vmcnt(0)
	v_subrev_u32_e32 v0, s21, v0
.LBB18_11:
	s_or_b64 exec, exec, s[4:5]
	v_min_i32_e32 v18, v0, v2
	v_mbcnt_lo_u32_b32 v0, -1, 0
	v_subrev_u32_e32 v24, s21, v1
	v_and_b32_e32 v1, 31, v16
	v_mbcnt_hi_u32_b32 v0, -1, v0
	v_subrev_u32_e32 v23, s20, v3
	v_and_b32_e32 v2, 64, v0
	v_xor_b32_e32 v3, 31, v1
	v_add_u32_e32 v2, 64, v2
	v_lshrrev_b32_e64 v27, v3, -1
	v_xor_b32_e32 v3, 16, v0
	v_cmp_lt_i32_e32 vcc, v3, v2
	v_cndmask_b32_e32 v3, v0, v3, vcc
	v_lshlrev_b32_e32 v29, 2, v3
	v_xor_b32_e32 v3, 8, v0
	v_cmp_lt_i32_e32 vcc, v3, v2
	v_cndmask_b32_e32 v3, v0, v3, vcc
	v_lshlrev_b32_e32 v30, 2, v3
	;; [unrolled: 4-line block ×4, first 2 shown]
	v_xor_b32_e32 v3, 1, v0
	v_and_b32_e32 v13, 0xe0, v16
	v_cmp_lt_i32_e32 vcc, v3, v2
	v_or_b32_e32 v21, 0x1000, v13
	v_lshlrev_b32_e32 v22, 4, v13
	v_subrev_u32_e32 v25, s22, v17
	v_mov_b32_e32 v17, 0
	v_cndmask_b32_e32 v0, v0, v3, vcc
	v_add_u32_e32 v12, v12, v1
	v_add_u32_e32 v14, v14, v1
	v_lshl_or_b32 v26, v1, 4, v22
	v_add_u32_e32 v28, s22, v1
	v_lshlrev_b32_e32 v33, 2, v0
	s_mov_b64 s[6:7], 0
	v_add_u32_e32 v34, v21, v1
	v_mov_b32_e32 v0, v17
	v_mov_b32_e32 v1, v17
	;; [unrolled: 1-line block ×5, first 2 shown]
	s_branch .LBB18_13
.LBB18_12:                              ;   in Loop: Header=BB18_13 Depth=1
	s_or_b64 exec, exec, s[22:23]
	ds_bpermute_b32 v13, v29, v19
	s_bcnt1_i32_b64 s4, vcc
	v_add_u32_e32 v25, s4, v25
	s_waitcnt lgkmcnt(0)
	v_min_i32_e32 v13, v13, v19
	ds_bpermute_b32 v15, v30, v13
	s_waitcnt lgkmcnt(0)
	v_min_i32_e32 v13, v15, v13
	ds_bpermute_b32 v15, v31, v13
	;; [unrolled: 3-line block ×4, first 2 shown]
	s_waitcnt lgkmcnt(0)
	v_min_i32_e32 v18, v15, v13
	v_ashrrev_i32_e32 v19, 31, v18
	v_cmp_le_i64_e32 vcc, s[14:15], v[18:19]
	s_or_b64 s[6:7], vcc, s[6:7]
	s_andn2_b64 exec, exec, s[6:7]
	s_cbranch_execz .LBB18_35
.LBB18_13:                              ; =>This Loop Header: Depth=1
                                        ;     Child Loop BB18_16 Depth 2
                                        ;     Child Loop BB18_26 Depth 2
	v_cmp_lt_i32_e32 vcc, v12, v23
	v_mov_b32_e32 v19, v20
	ds_write_b8 v34, v17
	ds_write_b128 v26, v[0:3]
	s_waitcnt lgkmcnt(0)
	s_and_saveexec_b64 s[22:23], vcc
	s_cbranch_execz .LBB18_23
; %bb.14:                               ;   in Loop: Header=BB18_13 Depth=1
	s_mov_b64 s[26:27], 0
	v_mov_b32_e32 v19, v20
	s_branch .LBB18_16
.LBB18_15:                              ;   in Loop: Header=BB18_16 Depth=2
	s_or_b64 exec, exec, s[28:29]
	s_and_b64 s[4:5], exec, s[4:5]
	s_or_b64 s[26:27], s[4:5], s[26:27]
	s_andn2_b64 exec, exec, s[26:27]
	s_cbranch_execz .LBB18_22
.LBB18_16:                              ;   Parent Loop BB18_13 Depth=1
                                        ; =>  This Inner Loop Header: Depth=2
	v_ashrrev_i32_e32 v13, 31, v12
	v_lshlrev_b64 v[36:37], 2, v[12:13]
	v_mov_b32_e32 v15, s11
	v_add_co_u32_e32 v36, vcc, s10, v36
	v_addc_co_u32_e32 v37, vcc, v15, v37, vcc
	global_load_dword v15, v[36:37], off
	s_waitcnt vmcnt(0)
	v_subrev_u32_e32 v16, s20, v15
	v_sub_u32_e32 v15, v16, v18
	v_cmp_gt_u32_e32 vcc, 32, v15
	v_cmp_lt_u32_e64 s[4:5], 31, v15
	s_and_saveexec_b64 s[28:29], s[4:5]
	s_xor_b64 s[4:5], exec, s[28:29]
	s_cbranch_execnz .LBB18_19
; %bb.17:                               ;   in Loop: Header=BB18_16 Depth=2
	s_andn2_saveexec_b64 s[28:29], s[4:5]
	s_cbranch_execnz .LBB18_20
.LBB18_18:                              ;   in Loop: Header=BB18_16 Depth=2
	s_or_b64 exec, exec, s[28:29]
	s_mov_b64 s[4:5], -1
	s_and_saveexec_b64 s[28:29], vcc
	s_cbranch_execz .LBB18_15
	s_branch .LBB18_21
.LBB18_19:                              ;   in Loop: Header=BB18_16 Depth=2
	v_min_i32_e32 v19, v16, v19
                                        ; implicit-def: $vgpr15
	s_andn2_saveexec_b64 s[28:29], s[4:5]
	s_cbranch_execz .LBB18_18
.LBB18_20:                              ;   in Loop: Header=BB18_16 Depth=2
	v_lshlrev_b64 v[36:37], 4, v[12:13]
	v_mov_b32_e32 v13, s25
	v_add_co_u32_e64 v36, s[4:5], s24, v36
	v_addc_co_u32_e64 v37, s[4:5], v13, v37, s[4:5]
	global_load_dwordx4 v[36:39], v[36:37], off
	v_add_u32_e32 v13, v21, v15
	ds_write_b8 v13, v35
	v_lshl_add_u32 v13, v15, 4, v22
	s_waitcnt vmcnt(0)
	v_mul_f64 v[40:41], v[38:39], -v[8:9]
	v_mul_f64 v[42:43], v[4:5], v[38:39]
	v_fmac_f64_e32 v[40:41], v[4:5], v[36:37]
	v_fmac_f64_e32 v[42:43], v[8:9], v[36:37]
	ds_write_b128 v13, v[40:43]
	s_or_b64 exec, exec, s[28:29]
	s_mov_b64 s[4:5], -1
	s_and_saveexec_b64 s[28:29], vcc
	s_cbranch_execz .LBB18_15
.LBB18_21:                              ;   in Loop: Header=BB18_16 Depth=2
	v_add_u32_e32 v12, 32, v12
	v_cmp_ge_i32_e32 vcc, v12, v23
	s_orn2_b64 s[4:5], vcc, exec
	s_branch .LBB18_15
.LBB18_22:                              ;   in Loop: Header=BB18_13 Depth=1
	s_or_b64 exec, exec, s[26:27]
.LBB18_23:                              ;   in Loop: Header=BB18_13 Depth=1
	s_or_b64 exec, exec, s[22:23]
	v_cmp_lt_i32_e32 vcc, v14, v24
	s_waitcnt lgkmcnt(0)
	s_and_saveexec_b64 s[22:23], vcc
	s_cbranch_execz .LBB18_33
; %bb.24:                               ;   in Loop: Header=BB18_13 Depth=1
	s_mov_b64 s[26:27], 0
	s_branch .LBB18_26
.LBB18_25:                              ;   in Loop: Header=BB18_26 Depth=2
	s_or_b64 exec, exec, s[28:29]
	s_and_b64 s[4:5], exec, s[4:5]
	s_or_b64 s[26:27], s[4:5], s[26:27]
	s_andn2_b64 exec, exec, s[26:27]
	s_cbranch_execz .LBB18_32
.LBB18_26:                              ;   Parent Loop BB18_13 Depth=1
                                        ; =>  This Inner Loop Header: Depth=2
	v_ashrrev_i32_e32 v15, 31, v14
	v_lshlrev_b64 v[36:37], 2, v[14:15]
	v_mov_b32_e32 v13, s9
	v_add_co_u32_e32 v36, vcc, s8, v36
	v_addc_co_u32_e32 v37, vcc, v13, v37, vcc
	global_load_dword v13, v[36:37], off
	s_waitcnt vmcnt(0)
	v_subrev_u32_e32 v16, s21, v13
	v_sub_u32_e32 v13, v16, v18
	v_cmp_gt_u32_e32 vcc, 32, v13
	v_cmp_lt_u32_e64 s[4:5], 31, v13
	s_and_saveexec_b64 s[28:29], s[4:5]
	s_xor_b64 s[4:5], exec, s[28:29]
	s_cbranch_execnz .LBB18_29
; %bb.27:                               ;   in Loop: Header=BB18_26 Depth=2
	s_andn2_saveexec_b64 s[28:29], s[4:5]
	s_cbranch_execnz .LBB18_30
.LBB18_28:                              ;   in Loop: Header=BB18_26 Depth=2
	s_or_b64 exec, exec, s[28:29]
	s_mov_b64 s[4:5], -1
	s_and_saveexec_b64 s[28:29], vcc
	s_cbranch_execz .LBB18_25
	s_branch .LBB18_31
.LBB18_29:                              ;   in Loop: Header=BB18_26 Depth=2
	v_min_i32_e32 v19, v16, v19
                                        ; implicit-def: $vgpr13
	s_andn2_saveexec_b64 s[28:29], s[4:5]
	s_cbranch_execz .LBB18_28
.LBB18_30:                              ;   in Loop: Header=BB18_26 Depth=2
	v_lshlrev_b64 v[36:37], 4, v[14:15]
	v_mov_b32_e32 v15, s13
	v_add_co_u32_e64 v36, s[4:5], s12, v36
	v_addc_co_u32_e64 v37, s[4:5], v15, v37, s[4:5]
	global_load_dwordx4 v[36:39], v[36:37], off
	v_lshl_add_u32 v15, v13, 4, v22
	ds_read_b128 v[40:43], v15
	v_add_u32_e32 v13, v21, v13
	ds_write_b8 v13, v35
	s_waitcnt vmcnt(0) lgkmcnt(1)
	v_fmac_f64_e32 v[40:41], v[10:11], v[36:37]
	v_fmac_f64_e32 v[42:43], v[6:7], v[36:37]
	v_fma_f64 v[40:41], -v[6:7], v[38:39], v[40:41]
	v_fmac_f64_e32 v[42:43], v[10:11], v[38:39]
	ds_write_b128 v15, v[40:43]
	s_or_b64 exec, exec, s[28:29]
	s_mov_b64 s[4:5], -1
	s_and_saveexec_b64 s[28:29], vcc
	s_cbranch_execz .LBB18_25
.LBB18_31:                              ;   in Loop: Header=BB18_26 Depth=2
	v_add_u32_e32 v14, 32, v14
	v_cmp_ge_i32_e32 vcc, v14, v24
	s_orn2_b64 s[4:5], vcc, exec
	s_branch .LBB18_25
.LBB18_32:                              ;   in Loop: Header=BB18_13 Depth=1
	s_or_b64 exec, exec, s[26:27]
.LBB18_33:                              ;   in Loop: Header=BB18_13 Depth=1
	s_or_b64 exec, exec, s[22:23]
	s_waitcnt lgkmcnt(0)
	ds_read_u8 v13, v34
	s_waitcnt lgkmcnt(0)
	v_and_b32_e32 v15, 1, v13
	v_cmp_eq_u32_e64 s[4:5], 1, v15
	v_cmp_ne_u16_e32 vcc, 0, v13
	s_and_saveexec_b64 s[22:23], s[4:5]
	s_cbranch_execz .LBB18_12
; %bb.34:                               ;   in Loop: Header=BB18_13 Depth=1
	v_and_b32_e32 v13, vcc_lo, v27
	v_bcnt_u32_b32 v13, v13, 0
	v_add3_u32 v16, v25, v13, -1
	v_lshlrev_b64 v[36:37], 4, v[16:17]
	v_mov_b32_e32 v13, s19
	v_add_co_u32_e64 v40, s[4:5], s18, v36
	v_addc_co_u32_e64 v41, s[4:5], v13, v37, s[4:5]
	ds_read2_b64 v[36:39], v26 offset1:1
	v_lshlrev_b64 v[42:43], 2, v[16:17]
	v_mov_b32_e32 v13, s17
	v_add_co_u32_e64 v42, s[4:5], s16, v42
	v_addc_co_u32_e64 v43, s[4:5], v13, v43, s[4:5]
	v_add_u32_e32 v13, v28, v18
	global_store_dword v[42:43], v13, off
	s_waitcnt lgkmcnt(0)
	global_store_dwordx4 v[40:41], v[36:39], off
	s_branch .LBB18_12
.LBB18_35:
	s_endpgm
	.section	.rodata,"a",@progbits
	.p2align	6, 0x0
	.amdhsa_kernel _ZN9rocsparseL29csrgeam_fill_multipass_kernelILj256ELj32Eii21rocsparse_complex_numIdEEEvllNS_24const_host_device_scalarIT3_EEPKT1_PKT2_PKS4_S5_S8_SB_SD_S8_PS9_PS4_21rocsparse_index_base_SG_SG_bbb
		.amdhsa_group_segment_fixed_size 6400
		.amdhsa_private_segment_fixed_size 16
		.amdhsa_kernarg_size 136
		.amdhsa_user_sgpr_count 10
		.amdhsa_user_sgpr_private_segment_buffer 1
		.amdhsa_user_sgpr_dispatch_ptr 1
		.amdhsa_user_sgpr_queue_ptr 0
		.amdhsa_user_sgpr_kernarg_segment_ptr 1
		.amdhsa_user_sgpr_dispatch_id 0
		.amdhsa_user_sgpr_flat_scratch_init 1
		.amdhsa_user_sgpr_kernarg_preload_length 0
		.amdhsa_user_sgpr_kernarg_preload_offset 0
		.amdhsa_user_sgpr_private_segment_size 0
		.amdhsa_uses_dynamic_stack 0
		.amdhsa_system_sgpr_private_segment_wavefront_offset 1
		.amdhsa_system_sgpr_workgroup_id_x 1
		.amdhsa_system_sgpr_workgroup_id_y 0
		.amdhsa_system_sgpr_workgroup_id_z 0
		.amdhsa_system_sgpr_workgroup_info 0
		.amdhsa_system_vgpr_workitem_id 2
		.amdhsa_next_free_vgpr 44
		.amdhsa_next_free_sgpr 32
		.amdhsa_accum_offset 44
		.amdhsa_reserve_vcc 1
		.amdhsa_reserve_flat_scratch 1
		.amdhsa_float_round_mode_32 0
		.amdhsa_float_round_mode_16_64 0
		.amdhsa_float_denorm_mode_32 3
		.amdhsa_float_denorm_mode_16_64 3
		.amdhsa_dx10_clamp 1
		.amdhsa_ieee_mode 1
		.amdhsa_fp16_overflow 0
		.amdhsa_tg_split 0
		.amdhsa_exception_fp_ieee_invalid_op 0
		.amdhsa_exception_fp_denorm_src 0
		.amdhsa_exception_fp_ieee_div_zero 0
		.amdhsa_exception_fp_ieee_overflow 0
		.amdhsa_exception_fp_ieee_underflow 0
		.amdhsa_exception_fp_ieee_inexact 0
		.amdhsa_exception_int_div_zero 0
	.end_amdhsa_kernel
	.section	.text._ZN9rocsparseL29csrgeam_fill_multipass_kernelILj256ELj32Eii21rocsparse_complex_numIdEEEvllNS_24const_host_device_scalarIT3_EEPKT1_PKT2_PKS4_S5_S8_SB_SD_S8_PS9_PS4_21rocsparse_index_base_SG_SG_bbb,"axG",@progbits,_ZN9rocsparseL29csrgeam_fill_multipass_kernelILj256ELj32Eii21rocsparse_complex_numIdEEEvllNS_24const_host_device_scalarIT3_EEPKT1_PKT2_PKS4_S5_S8_SB_SD_S8_PS9_PS4_21rocsparse_index_base_SG_SG_bbb,comdat
.Lfunc_end18:
	.size	_ZN9rocsparseL29csrgeam_fill_multipass_kernelILj256ELj32Eii21rocsparse_complex_numIdEEEvllNS_24const_host_device_scalarIT3_EEPKT1_PKT2_PKS4_S5_S8_SB_SD_S8_PS9_PS4_21rocsparse_index_base_SG_SG_bbb, .Lfunc_end18-_ZN9rocsparseL29csrgeam_fill_multipass_kernelILj256ELj32Eii21rocsparse_complex_numIdEEEvllNS_24const_host_device_scalarIT3_EEPKT1_PKT2_PKS4_S5_S8_SB_SD_S8_PS9_PS4_21rocsparse_index_base_SG_SG_bbb
                                        ; -- End function
	.section	.AMDGPU.csdata,"",@progbits
; Kernel info:
; codeLenInByte = 1756
; NumSgprs: 38
; NumVgprs: 44
; NumAgprs: 0
; TotalNumVgprs: 44
; ScratchSize: 16
; MemoryBound: 0
; FloatMode: 240
; IeeeMode: 1
; LDSByteSize: 6400 bytes/workgroup (compile time only)
; SGPRBlocks: 4
; VGPRBlocks: 5
; NumSGPRsForWavesPerEU: 38
; NumVGPRsForWavesPerEU: 44
; AccumOffset: 44
; Occupancy: 8
; WaveLimiterHint : 1
; COMPUTE_PGM_RSRC2:SCRATCH_EN: 1
; COMPUTE_PGM_RSRC2:USER_SGPR: 10
; COMPUTE_PGM_RSRC2:TRAP_HANDLER: 0
; COMPUTE_PGM_RSRC2:TGID_X_EN: 1
; COMPUTE_PGM_RSRC2:TGID_Y_EN: 0
; COMPUTE_PGM_RSRC2:TGID_Z_EN: 0
; COMPUTE_PGM_RSRC2:TIDIG_COMP_CNT: 2
; COMPUTE_PGM_RSRC3_GFX90A:ACCUM_OFFSET: 10
; COMPUTE_PGM_RSRC3_GFX90A:TG_SPLIT: 0
	.section	.text._ZN9rocsparseL29csrgeam_fill_multipass_kernelILj256ELj64Eii21rocsparse_complex_numIdEEEvllNS_24const_host_device_scalarIT3_EEPKT1_PKT2_PKS4_S5_S8_SB_SD_S8_PS9_PS4_21rocsparse_index_base_SG_SG_bbb,"axG",@progbits,_ZN9rocsparseL29csrgeam_fill_multipass_kernelILj256ELj64Eii21rocsparse_complex_numIdEEEvllNS_24const_host_device_scalarIT3_EEPKT1_PKT2_PKS4_S5_S8_SB_SD_S8_PS9_PS4_21rocsparse_index_base_SG_SG_bbb,comdat
	.globl	_ZN9rocsparseL29csrgeam_fill_multipass_kernelILj256ELj64Eii21rocsparse_complex_numIdEEEvllNS_24const_host_device_scalarIT3_EEPKT1_PKT2_PKS4_S5_S8_SB_SD_S8_PS9_PS4_21rocsparse_index_base_SG_SG_bbb ; -- Begin function _ZN9rocsparseL29csrgeam_fill_multipass_kernelILj256ELj64Eii21rocsparse_complex_numIdEEEvllNS_24const_host_device_scalarIT3_EEPKT1_PKT2_PKS4_S5_S8_SB_SD_S8_PS9_PS4_21rocsparse_index_base_SG_SG_bbb
	.p2align	8
	.type	_ZN9rocsparseL29csrgeam_fill_multipass_kernelILj256ELj64Eii21rocsparse_complex_numIdEEEvllNS_24const_host_device_scalarIT3_EEPKT1_PKT2_PKS4_S5_S8_SB_SD_S8_PS9_PS4_21rocsparse_index_base_SG_SG_bbb,@function
_ZN9rocsparseL29csrgeam_fill_multipass_kernelILj256ELj64Eii21rocsparse_complex_numIdEEEvllNS_24const_host_device_scalarIT3_EEPKT1_PKT2_PKS4_S5_S8_SB_SD_S8_PS9_PS4_21rocsparse_index_base_SG_SG_bbb: ; @_ZN9rocsparseL29csrgeam_fill_multipass_kernelILj256ELj64Eii21rocsparse_complex_numIdEEEvllNS_24const_host_device_scalarIT3_EEPKT1_PKT2_PKS4_S5_S8_SB_SD_S8_PS9_PS4_21rocsparse_index_base_SG_SG_bbb
; %bb.0:
	s_add_u32 flat_scratch_lo, s8, s11
	s_addc_u32 flat_scratch_hi, s9, 0
	s_add_u32 s0, s0, s11
	s_load_dword s11, s[6:7], 0x84
	s_load_dwordx8 s[12:19], s[6:7], 0x0
	s_load_dwordx2 s[8:9], s[4:5], 0x4
	s_load_dwordx4 s[24:27], s[6:7], 0x38
	s_load_dwordx4 s[20:23], s[6:7], 0x78
	s_addc_u32 s1, s1, 0
	s_waitcnt lgkmcnt(0)
	s_bitcmp1_b32 s11, 16
	s_cselect_b64 s[4:5], -1, 0
	s_lshr_b32 s8, s8, 16
	v_and_b32_e32 v16, 0x3ff, v0
	s_mul_i32 s8, s8, s9
	v_mul_lo_u32 v1, s8, v16
	v_bfe_u32 v2, v0, 10, 10
	v_mad_u32_u24 v1, v2, s9, v1
	v_bfe_u32 v0, v0, 20, 10
	v_add_lshl_u32 v0, v1, v0, 3
	v_mov_b32_e32 v1, s25
	buffer_store_dword v1, off, s[0:3], 0 offset:4
	v_mov_b32_e32 v1, s24
	s_xor_b64 s[8:9], s[4:5], -1
	buffer_store_dword v1, off, s[0:3], 0
	v_pk_mov_b32 v[6:7], 0, 0
	v_cndmask_b32_e64 v1, 0, 1, s[8:9]
	v_pk_mov_b32 v[2:3], s[16:17], s[16:17] op_sel:[0,1]
	s_bitcmp0_b32 s23, 0
	v_cmp_ne_u32_e64 s[8:9], 1, v1
	v_pk_mov_b32 v[4:5], v[6:7], v[6:7] op_sel:[0,1]
	v_pk_mov_b32 v[8:9], v[6:7], v[6:7] op_sel:[0,1]
	ds_write_b64 v0, v[2:3] offset:4352
	s_cbranch_scc1 .LBB19_3
; %bb.1:
	s_mov_b64 s[28:29], src_shared_base
	s_and_b64 s[30:31], s[4:5], exec
	v_add_u32_e32 v0, 0x1100, v0
	s_cselect_b32 s23, s29, s17
	v_mov_b32_e32 v1, s16
	v_cndmask_b32_e64 v0, v1, v0, s[4:5]
	v_mov_b32_e32 v1, s23
	flat_load_dwordx2 v[4:5], v[0:1]
	s_and_b64 vcc, exec, s[8:9]
	v_pk_mov_b32 v[8:9], s[18:19], s[18:19] op_sel:[0,1]
	s_cbranch_vccnz .LBB19_3
; %bb.2:
	v_pk_mov_b32 v[0:1], s[16:17], s[16:17] op_sel:[0,1]
	flat_load_dwordx2 v[8:9], v[0:1] offset:8
.LBB19_3:
	s_bfe_u32 s11, s11, 0x10008
	s_cmp_eq_u32 s11, 0
	v_pk_mov_b32 v[10:11], v[6:7], v[6:7] op_sel:[0,1]
	s_cbranch_scc1 .LBB19_6
; %bb.4:
	s_mov_b64 s[16:17], src_private_base
	s_and_b64 s[18:19], s[4:5], exec
	s_cselect_b32 s11, s17, s25
	v_mov_b32_e32 v0, 0
	v_mov_b32_e32 v1, s24
	v_cndmask_b32_e64 v0, v1, v0, s[4:5]
	v_mov_b32_e32 v1, s11
	flat_load_dwordx2 v[10:11], v[0:1]
	s_and_b64 vcc, exec, s[8:9]
	v_pk_mov_b32 v[6:7], s[26:27], s[26:27] op_sel:[0,1]
	s_cbranch_vccnz .LBB19_6
; %bb.5:
	v_pk_mov_b32 v[0:1], s[24:25], s[24:25] op_sel:[0,1]
	flat_load_dwordx2 v[6:7], v[0:1] offset:8
.LBB19_6:
	s_lshl_b32 s4, s10, 2
	v_lshrrev_b32_e32 v0, 6, v16
	s_and_b32 s4, s4, 0x3fffffc
	v_or_b32_e32 v0, s4, v0
	v_mov_b32_e32 v1, 0
	v_cmp_gt_i64_e32 vcc, s[12:13], v[0:1]
	s_and_saveexec_b64 s[4:5], vcc
	s_cbranch_execz .LBB19_35
; %bb.7:
	s_load_dwordx4 s[8:11], s[6:7], 0x20
	s_load_dwordx2 s[4:5], s[6:7], 0x48
	s_load_dwordx2 s[12:13], s[6:7], 0x60
	v_lshlrev_b32_e32 v12, 2, v0
	s_waitcnt lgkmcnt(0)
	global_load_dwordx2 v[2:3], v12, s[8:9]
	global_load_dwordx2 v[0:1], v12, s[4:5]
	global_load_dword v17, v12, s[12:13]
	s_waitcnt vmcnt(0)
	v_cmp_ge_i32_e32 vcc, v2, v3
	s_and_saveexec_b64 s[4:5], vcc
	s_xor_b64 s[4:5], exec, s[4:5]
	s_or_saveexec_b64 s[4:5], s[4:5]
	v_subrev_u32_e32 v12, s20, v2
	v_mov_b32_e32 v2, s14
	s_xor_b64 exec, exec, s[4:5]
	s_cbranch_execz .LBB19_9
; %bb.8:
	v_ashrrev_i32_e32 v13, 31, v12
	v_lshlrev_b64 v[14:15], 2, v[12:13]
	v_mov_b32_e32 v2, s11
	v_add_co_u32_e32 v14, vcc, s10, v14
	v_addc_co_u32_e32 v15, vcc, v2, v15, vcc
	global_load_dword v2, v[14:15], off
	s_waitcnt vmcnt(0)
	v_subrev_u32_e32 v2, s20, v2
.LBB19_9:
	s_or_b64 exec, exec, s[4:5]
	s_load_dwordx2 s[8:9], s[6:7], 0x50
	v_cmp_ge_i32_e32 vcc, v0, v1
	s_and_saveexec_b64 s[4:5], vcc
	s_xor_b64 s[4:5], exec, s[4:5]
	s_or_saveexec_b64 s[4:5], s[4:5]
	s_load_dwordx4 s[16:19], s[6:7], 0x68
	s_load_dwordx2 s[12:13], s[6:7], 0x58
	s_load_dwordx2 s[24:25], s[6:7], 0x30
	v_subrev_u32_e32 v14, s21, v0
	v_mov_b32_e32 v22, s14
	v_mov_b32_e32 v0, s14
	s_xor_b64 exec, exec, s[4:5]
	s_cbranch_execz .LBB19_11
; %bb.10:
	v_ashrrev_i32_e32 v15, 31, v14
	v_lshlrev_b64 v[18:19], 2, v[14:15]
	s_waitcnt lgkmcnt(0)
	v_mov_b32_e32 v0, s9
	v_add_co_u32_e32 v18, vcc, s8, v18
	v_addc_co_u32_e32 v19, vcc, v0, v19, vcc
	global_load_dword v0, v[18:19], off
	v_mov_b32_e32 v22, s14
	s_waitcnt vmcnt(0)
	v_subrev_u32_e32 v0, s21, v0
.LBB19_11:
	s_or_b64 exec, exec, s[4:5]
	v_min_i32_e32 v20, v0, v2
	v_mbcnt_lo_u32_b32 v0, -1, 0
	v_subrev_u32_e32 v26, s21, v1
	v_and_b32_e32 v1, 63, v16
	v_mbcnt_hi_u32_b32 v0, -1, v0
	v_subrev_u32_e32 v25, s20, v3
	v_and_b32_e32 v2, 64, v0
	v_xor_b32_e32 v3, 63, v1
	v_add_u32_e32 v2, 64, v2
	v_lshrrev_b64 v[18:19], v3, -1
	v_xor_b32_e32 v3, 32, v0
	v_cmp_lt_i32_e32 vcc, v3, v2
	v_cndmask_b32_e32 v3, v0, v3, vcc
	v_lshlrev_b32_e32 v30, 2, v3
	v_xor_b32_e32 v3, 16, v0
	v_cmp_lt_i32_e32 vcc, v3, v2
	v_cndmask_b32_e32 v3, v0, v3, vcc
	v_lshlrev_b32_e32 v31, 2, v3
	;; [unrolled: 4-line block ×5, first 2 shown]
	v_xor_b32_e32 v3, 1, v0
	v_and_b32_e32 v13, 0xc0, v16
	v_cmp_lt_i32_e32 vcc, v3, v2
	v_or_b32_e32 v23, 0x1000, v13
	v_lshlrev_b32_e32 v24, 4, v13
	v_subrev_u32_e32 v27, s22, v17
	v_mov_b32_e32 v17, 0
	v_cndmask_b32_e32 v0, v0, v3, vcc
	v_add_u32_e32 v12, v12, v1
	v_add_u32_e32 v14, v14, v1
	v_lshl_or_b32 v28, v1, 4, v24
	v_add_u32_e32 v29, s22, v1
	v_lshlrev_b32_e32 v35, 2, v0
	s_mov_b64 s[6:7], 0
	v_add_u32_e32 v36, v23, v1
	v_mov_b32_e32 v0, v17
	v_mov_b32_e32 v1, v17
	;; [unrolled: 1-line block ×5, first 2 shown]
	s_branch .LBB19_13
.LBB19_12:                              ;   in Loop: Header=BB19_13 Depth=1
	s_or_b64 exec, exec, s[22:23]
	ds_bpermute_b32 v13, v30, v21
	s_bcnt1_i32_b64 s4, vcc
	v_add_u32_e32 v27, s4, v27
	s_waitcnt lgkmcnt(0)
	v_min_i32_e32 v13, v13, v21
	ds_bpermute_b32 v15, v31, v13
	s_waitcnt lgkmcnt(0)
	v_min_i32_e32 v13, v15, v13
	ds_bpermute_b32 v15, v32, v13
	;; [unrolled: 3-line block ×5, first 2 shown]
	s_waitcnt lgkmcnt(0)
	v_min_i32_e32 v20, v15, v13
	v_ashrrev_i32_e32 v21, 31, v20
	v_cmp_le_i64_e32 vcc, s[14:15], v[20:21]
	s_or_b64 s[6:7], vcc, s[6:7]
	s_andn2_b64 exec, exec, s[6:7]
	s_cbranch_execz .LBB19_35
.LBB19_13:                              ; =>This Loop Header: Depth=1
                                        ;     Child Loop BB19_16 Depth 2
                                        ;     Child Loop BB19_26 Depth 2
	v_cmp_lt_i32_e32 vcc, v12, v25
	v_mov_b32_e32 v21, v22
	ds_write_b8 v36, v17
	ds_write_b128 v28, v[0:3]
	s_waitcnt lgkmcnt(0)
	s_and_saveexec_b64 s[22:23], vcc
	s_cbranch_execz .LBB19_23
; %bb.14:                               ;   in Loop: Header=BB19_13 Depth=1
	s_mov_b64 s[26:27], 0
	v_mov_b32_e32 v21, v22
	s_branch .LBB19_16
.LBB19_15:                              ;   in Loop: Header=BB19_16 Depth=2
	s_or_b64 exec, exec, s[28:29]
	s_and_b64 s[4:5], exec, s[4:5]
	s_or_b64 s[26:27], s[4:5], s[26:27]
	s_andn2_b64 exec, exec, s[26:27]
	s_cbranch_execz .LBB19_22
.LBB19_16:                              ;   Parent Loop BB19_13 Depth=1
                                        ; =>  This Inner Loop Header: Depth=2
	v_ashrrev_i32_e32 v13, 31, v12
	v_lshlrev_b64 v[38:39], 2, v[12:13]
	v_mov_b32_e32 v15, s11
	v_add_co_u32_e32 v38, vcc, s10, v38
	v_addc_co_u32_e32 v39, vcc, v15, v39, vcc
	global_load_dword v15, v[38:39], off
	s_waitcnt vmcnt(0)
	v_subrev_u32_e32 v16, s20, v15
	v_sub_u32_e32 v15, v16, v20
	v_cmp_gt_u32_e32 vcc, 64, v15
	v_cmp_lt_u32_e64 s[4:5], 63, v15
	s_and_saveexec_b64 s[28:29], s[4:5]
	s_xor_b64 s[4:5], exec, s[28:29]
	s_cbranch_execnz .LBB19_19
; %bb.17:                               ;   in Loop: Header=BB19_16 Depth=2
	s_andn2_saveexec_b64 s[28:29], s[4:5]
	s_cbranch_execnz .LBB19_20
.LBB19_18:                              ;   in Loop: Header=BB19_16 Depth=2
	s_or_b64 exec, exec, s[28:29]
	s_mov_b64 s[4:5], -1
	s_and_saveexec_b64 s[28:29], vcc
	s_cbranch_execz .LBB19_15
	s_branch .LBB19_21
.LBB19_19:                              ;   in Loop: Header=BB19_16 Depth=2
	v_min_i32_e32 v21, v16, v21
                                        ; implicit-def: $vgpr15
	s_andn2_saveexec_b64 s[28:29], s[4:5]
	s_cbranch_execz .LBB19_18
.LBB19_20:                              ;   in Loop: Header=BB19_16 Depth=2
	v_lshlrev_b64 v[38:39], 4, v[12:13]
	v_mov_b32_e32 v13, s25
	v_add_co_u32_e64 v38, s[4:5], s24, v38
	v_addc_co_u32_e64 v39, s[4:5], v13, v39, s[4:5]
	global_load_dwordx4 v[38:41], v[38:39], off
	v_add_u32_e32 v13, v23, v15
	ds_write_b8 v13, v37
	v_lshl_add_u32 v13, v15, 4, v24
	s_waitcnt vmcnt(0)
	v_mul_f64 v[42:43], v[40:41], -v[8:9]
	v_mul_f64 v[44:45], v[4:5], v[40:41]
	v_fmac_f64_e32 v[42:43], v[4:5], v[38:39]
	v_fmac_f64_e32 v[44:45], v[8:9], v[38:39]
	ds_write_b128 v13, v[42:45]
	s_or_b64 exec, exec, s[28:29]
	s_mov_b64 s[4:5], -1
	s_and_saveexec_b64 s[28:29], vcc
	s_cbranch_execz .LBB19_15
.LBB19_21:                              ;   in Loop: Header=BB19_16 Depth=2
	v_add_u32_e32 v12, 64, v12
	v_cmp_ge_i32_e32 vcc, v12, v25
	s_orn2_b64 s[4:5], vcc, exec
	s_branch .LBB19_15
.LBB19_22:                              ;   in Loop: Header=BB19_13 Depth=1
	s_or_b64 exec, exec, s[26:27]
.LBB19_23:                              ;   in Loop: Header=BB19_13 Depth=1
	s_or_b64 exec, exec, s[22:23]
	v_cmp_lt_i32_e32 vcc, v14, v26
	s_waitcnt lgkmcnt(0)
	s_and_saveexec_b64 s[22:23], vcc
	s_cbranch_execz .LBB19_33
; %bb.24:                               ;   in Loop: Header=BB19_13 Depth=1
	s_mov_b64 s[26:27], 0
	s_branch .LBB19_26
.LBB19_25:                              ;   in Loop: Header=BB19_26 Depth=2
	s_or_b64 exec, exec, s[28:29]
	s_and_b64 s[4:5], exec, s[4:5]
	s_or_b64 s[26:27], s[4:5], s[26:27]
	s_andn2_b64 exec, exec, s[26:27]
	s_cbranch_execz .LBB19_32
.LBB19_26:                              ;   Parent Loop BB19_13 Depth=1
                                        ; =>  This Inner Loop Header: Depth=2
	v_ashrrev_i32_e32 v15, 31, v14
	v_lshlrev_b64 v[38:39], 2, v[14:15]
	v_mov_b32_e32 v13, s9
	v_add_co_u32_e32 v38, vcc, s8, v38
	v_addc_co_u32_e32 v39, vcc, v13, v39, vcc
	global_load_dword v13, v[38:39], off
	s_waitcnt vmcnt(0)
	v_subrev_u32_e32 v16, s21, v13
	v_sub_u32_e32 v13, v16, v20
	v_cmp_gt_u32_e32 vcc, 64, v13
	v_cmp_lt_u32_e64 s[4:5], 63, v13
	s_and_saveexec_b64 s[28:29], s[4:5]
	s_xor_b64 s[4:5], exec, s[28:29]
	s_cbranch_execnz .LBB19_29
; %bb.27:                               ;   in Loop: Header=BB19_26 Depth=2
	s_andn2_saveexec_b64 s[28:29], s[4:5]
	s_cbranch_execnz .LBB19_30
.LBB19_28:                              ;   in Loop: Header=BB19_26 Depth=2
	s_or_b64 exec, exec, s[28:29]
	s_mov_b64 s[4:5], -1
	s_and_saveexec_b64 s[28:29], vcc
	s_cbranch_execz .LBB19_25
	s_branch .LBB19_31
.LBB19_29:                              ;   in Loop: Header=BB19_26 Depth=2
	v_min_i32_e32 v21, v16, v21
                                        ; implicit-def: $vgpr13
	s_andn2_saveexec_b64 s[28:29], s[4:5]
	s_cbranch_execz .LBB19_28
.LBB19_30:                              ;   in Loop: Header=BB19_26 Depth=2
	v_lshlrev_b64 v[38:39], 4, v[14:15]
	v_mov_b32_e32 v15, s13
	v_add_co_u32_e64 v38, s[4:5], s12, v38
	v_addc_co_u32_e64 v39, s[4:5], v15, v39, s[4:5]
	global_load_dwordx4 v[38:41], v[38:39], off
	v_lshl_add_u32 v15, v13, 4, v24
	ds_read_b128 v[42:45], v15
	v_add_u32_e32 v13, v23, v13
	ds_write_b8 v13, v37
	s_waitcnt vmcnt(0) lgkmcnt(1)
	v_fmac_f64_e32 v[42:43], v[10:11], v[38:39]
	v_fmac_f64_e32 v[44:45], v[6:7], v[38:39]
	v_fma_f64 v[42:43], -v[6:7], v[40:41], v[42:43]
	v_fmac_f64_e32 v[44:45], v[10:11], v[40:41]
	ds_write_b128 v15, v[42:45]
	s_or_b64 exec, exec, s[28:29]
	s_mov_b64 s[4:5], -1
	s_and_saveexec_b64 s[28:29], vcc
	s_cbranch_execz .LBB19_25
.LBB19_31:                              ;   in Loop: Header=BB19_26 Depth=2
	v_add_u32_e32 v14, 64, v14
	v_cmp_ge_i32_e32 vcc, v14, v26
	s_orn2_b64 s[4:5], vcc, exec
	s_branch .LBB19_25
.LBB19_32:                              ;   in Loop: Header=BB19_13 Depth=1
	s_or_b64 exec, exec, s[26:27]
.LBB19_33:                              ;   in Loop: Header=BB19_13 Depth=1
	s_or_b64 exec, exec, s[22:23]
	s_waitcnt lgkmcnt(0)
	ds_read_u8 v13, v36
	s_waitcnt lgkmcnt(0)
	v_and_b32_e32 v15, 1, v13
	v_cmp_eq_u32_e64 s[4:5], 1, v15
	v_cmp_ne_u16_e32 vcc, 0, v13
	s_and_saveexec_b64 s[22:23], s[4:5]
	s_cbranch_execz .LBB19_12
; %bb.34:                               ;   in Loop: Header=BB19_13 Depth=1
	v_and_b32_e32 v15, vcc_lo, v18
	v_and_b32_e32 v13, vcc_hi, v19
	v_bcnt_u32_b32 v15, v15, 0
	v_bcnt_u32_b32 v13, v13, v15
	v_add3_u32 v16, v27, v13, -1
	v_lshlrev_b64 v[38:39], 2, v[16:17]
	v_mov_b32_e32 v13, s17
	v_add_co_u32_e64 v38, s[4:5], s16, v38
	v_add_u32_e32 v15, v29, v20
	v_addc_co_u32_e64 v39, s[4:5], v13, v39, s[4:5]
	global_store_dword v[38:39], v15, off
	ds_read2_b64 v[38:41], v28 offset1:1
	v_lshlrev_b64 v[42:43], 4, v[16:17]
	v_mov_b32_e32 v13, s19
	v_add_co_u32_e64 v42, s[4:5], s18, v42
	v_addc_co_u32_e64 v43, s[4:5], v13, v43, s[4:5]
	s_waitcnt lgkmcnt(0)
	global_store_dwordx4 v[42:43], v[38:41], off
	s_branch .LBB19_12
.LBB19_35:
	s_endpgm
	.section	.rodata,"a",@progbits
	.p2align	6, 0x0
	.amdhsa_kernel _ZN9rocsparseL29csrgeam_fill_multipass_kernelILj256ELj64Eii21rocsparse_complex_numIdEEEvllNS_24const_host_device_scalarIT3_EEPKT1_PKT2_PKS4_S5_S8_SB_SD_S8_PS9_PS4_21rocsparse_index_base_SG_SG_bbb
		.amdhsa_group_segment_fixed_size 6400
		.amdhsa_private_segment_fixed_size 16
		.amdhsa_kernarg_size 136
		.amdhsa_user_sgpr_count 10
		.amdhsa_user_sgpr_private_segment_buffer 1
		.amdhsa_user_sgpr_dispatch_ptr 1
		.amdhsa_user_sgpr_queue_ptr 0
		.amdhsa_user_sgpr_kernarg_segment_ptr 1
		.amdhsa_user_sgpr_dispatch_id 0
		.amdhsa_user_sgpr_flat_scratch_init 1
		.amdhsa_user_sgpr_kernarg_preload_length 0
		.amdhsa_user_sgpr_kernarg_preload_offset 0
		.amdhsa_user_sgpr_private_segment_size 0
		.amdhsa_uses_dynamic_stack 0
		.amdhsa_system_sgpr_private_segment_wavefront_offset 1
		.amdhsa_system_sgpr_workgroup_id_x 1
		.amdhsa_system_sgpr_workgroup_id_y 0
		.amdhsa_system_sgpr_workgroup_id_z 0
		.amdhsa_system_sgpr_workgroup_info 0
		.amdhsa_system_vgpr_workitem_id 2
		.amdhsa_next_free_vgpr 46
		.amdhsa_next_free_sgpr 32
		.amdhsa_accum_offset 48
		.amdhsa_reserve_vcc 1
		.amdhsa_reserve_flat_scratch 1
		.amdhsa_float_round_mode_32 0
		.amdhsa_float_round_mode_16_64 0
		.amdhsa_float_denorm_mode_32 3
		.amdhsa_float_denorm_mode_16_64 3
		.amdhsa_dx10_clamp 1
		.amdhsa_ieee_mode 1
		.amdhsa_fp16_overflow 0
		.amdhsa_tg_split 0
		.amdhsa_exception_fp_ieee_invalid_op 0
		.amdhsa_exception_fp_denorm_src 0
		.amdhsa_exception_fp_ieee_div_zero 0
		.amdhsa_exception_fp_ieee_overflow 0
		.amdhsa_exception_fp_ieee_underflow 0
		.amdhsa_exception_fp_ieee_inexact 0
		.amdhsa_exception_int_div_zero 0
	.end_amdhsa_kernel
	.section	.text._ZN9rocsparseL29csrgeam_fill_multipass_kernelILj256ELj64Eii21rocsparse_complex_numIdEEEvllNS_24const_host_device_scalarIT3_EEPKT1_PKT2_PKS4_S5_S8_SB_SD_S8_PS9_PS4_21rocsparse_index_base_SG_SG_bbb,"axG",@progbits,_ZN9rocsparseL29csrgeam_fill_multipass_kernelILj256ELj64Eii21rocsparse_complex_numIdEEEvllNS_24const_host_device_scalarIT3_EEPKT1_PKT2_PKS4_S5_S8_SB_SD_S8_PS9_PS4_21rocsparse_index_base_SG_SG_bbb,comdat
.Lfunc_end19:
	.size	_ZN9rocsparseL29csrgeam_fill_multipass_kernelILj256ELj64Eii21rocsparse_complex_numIdEEEvllNS_24const_host_device_scalarIT3_EEPKT1_PKT2_PKS4_S5_S8_SB_SD_S8_PS9_PS4_21rocsparse_index_base_SG_SG_bbb, .Lfunc_end19-_ZN9rocsparseL29csrgeam_fill_multipass_kernelILj256ELj64Eii21rocsparse_complex_numIdEEEvllNS_24const_host_device_scalarIT3_EEPKT1_PKT2_PKS4_S5_S8_SB_SD_S8_PS9_PS4_21rocsparse_index_base_SG_SG_bbb
                                        ; -- End function
	.section	.AMDGPU.csdata,"",@progbits
; Kernel info:
; codeLenInByte = 1800
; NumSgprs: 38
; NumVgprs: 46
; NumAgprs: 0
; TotalNumVgprs: 46
; ScratchSize: 16
; MemoryBound: 0
; FloatMode: 240
; IeeeMode: 1
; LDSByteSize: 6400 bytes/workgroup (compile time only)
; SGPRBlocks: 4
; VGPRBlocks: 5
; NumSGPRsForWavesPerEU: 38
; NumVGPRsForWavesPerEU: 46
; AccumOffset: 48
; Occupancy: 8
; WaveLimiterHint : 1
; COMPUTE_PGM_RSRC2:SCRATCH_EN: 1
; COMPUTE_PGM_RSRC2:USER_SGPR: 10
; COMPUTE_PGM_RSRC2:TRAP_HANDLER: 0
; COMPUTE_PGM_RSRC2:TGID_X_EN: 1
; COMPUTE_PGM_RSRC2:TGID_Y_EN: 0
; COMPUTE_PGM_RSRC2:TGID_Z_EN: 0
; COMPUTE_PGM_RSRC2:TIDIG_COMP_CNT: 2
; COMPUTE_PGM_RSRC3_GFX90A:ACCUM_OFFSET: 11
; COMPUTE_PGM_RSRC3_GFX90A:TG_SPLIT: 0
	.section	.text._ZN9rocsparseL29csrgeam_fill_multipass_kernelILj256ELj32Eli21rocsparse_complex_numIdEEEvllNS_24const_host_device_scalarIT3_EEPKT1_PKT2_PKS4_S5_S8_SB_SD_S8_PS9_PS4_21rocsparse_index_base_SG_SG_bbb,"axG",@progbits,_ZN9rocsparseL29csrgeam_fill_multipass_kernelILj256ELj32Eli21rocsparse_complex_numIdEEEvllNS_24const_host_device_scalarIT3_EEPKT1_PKT2_PKS4_S5_S8_SB_SD_S8_PS9_PS4_21rocsparse_index_base_SG_SG_bbb,comdat
	.globl	_ZN9rocsparseL29csrgeam_fill_multipass_kernelILj256ELj32Eli21rocsparse_complex_numIdEEEvllNS_24const_host_device_scalarIT3_EEPKT1_PKT2_PKS4_S5_S8_SB_SD_S8_PS9_PS4_21rocsparse_index_base_SG_SG_bbb ; -- Begin function _ZN9rocsparseL29csrgeam_fill_multipass_kernelILj256ELj32Eli21rocsparse_complex_numIdEEEvllNS_24const_host_device_scalarIT3_EEPKT1_PKT2_PKS4_S5_S8_SB_SD_S8_PS9_PS4_21rocsparse_index_base_SG_SG_bbb
	.p2align	8
	.type	_ZN9rocsparseL29csrgeam_fill_multipass_kernelILj256ELj32Eli21rocsparse_complex_numIdEEEvllNS_24const_host_device_scalarIT3_EEPKT1_PKT2_PKS4_S5_S8_SB_SD_S8_PS9_PS4_21rocsparse_index_base_SG_SG_bbb,@function
_ZN9rocsparseL29csrgeam_fill_multipass_kernelILj256ELj32Eli21rocsparse_complex_numIdEEEvllNS_24const_host_device_scalarIT3_EEPKT1_PKT2_PKS4_S5_S8_SB_SD_S8_PS9_PS4_21rocsparse_index_base_SG_SG_bbb: ; @_ZN9rocsparseL29csrgeam_fill_multipass_kernelILj256ELj32Eli21rocsparse_complex_numIdEEEvllNS_24const_host_device_scalarIT3_EEPKT1_PKT2_PKS4_S5_S8_SB_SD_S8_PS9_PS4_21rocsparse_index_base_SG_SG_bbb
; %bb.0:
	s_add_u32 flat_scratch_lo, s8, s11
	s_addc_u32 flat_scratch_hi, s9, 0
	s_add_u32 s0, s0, s11
	s_load_dword s11, s[6:7], 0x84
	s_load_dwordx8 s[12:19], s[6:7], 0x0
	s_load_dwordx2 s[8:9], s[4:5], 0x4
	s_load_dwordx4 s[24:27], s[6:7], 0x38
	s_load_dwordx4 s[20:23], s[6:7], 0x78
	s_addc_u32 s1, s1, 0
	s_waitcnt lgkmcnt(0)
	s_bitcmp1_b32 s11, 16
	s_cselect_b64 s[4:5], -1, 0
	s_lshr_b32 s8, s8, 16
	v_and_b32_e32 v22, 0x3ff, v0
	s_mul_i32 s8, s8, s9
	v_mul_lo_u32 v1, s8, v22
	v_bfe_u32 v2, v0, 10, 10
	v_mad_u32_u24 v1, v2, s9, v1
	v_bfe_u32 v0, v0, 20, 10
	v_add_lshl_u32 v0, v1, v0, 3
	v_mov_b32_e32 v1, s25
	buffer_store_dword v1, off, s[0:3], 0 offset:4
	v_mov_b32_e32 v1, s24
	s_xor_b64 s[8:9], s[4:5], -1
	buffer_store_dword v1, off, s[0:3], 0
	v_pk_mov_b32 v[10:11], 0, 0
	v_cndmask_b32_e64 v1, 0, 1, s[8:9]
	v_pk_mov_b32 v[2:3], s[16:17], s[16:17] op_sel:[0,1]
	s_bitcmp0_b32 s23, 0
	v_cmp_ne_u32_e64 s[8:9], 1, v1
	v_pk_mov_b32 v[8:9], v[10:11], v[10:11] op_sel:[0,1]
	v_pk_mov_b32 v[12:13], v[10:11], v[10:11] op_sel:[0,1]
	ds_write_b64 v0, v[2:3] offset:4352
	s_cbranch_scc1 .LBB20_3
; %bb.1:
	s_mov_b64 s[28:29], src_shared_base
	s_and_b64 s[30:31], s[4:5], exec
	v_add_u32_e32 v0, 0x1100, v0
	s_cselect_b32 s23, s29, s17
	v_mov_b32_e32 v1, s16
	v_cndmask_b32_e64 v0, v1, v0, s[4:5]
	v_mov_b32_e32 v1, s23
	flat_load_dwordx2 v[8:9], v[0:1]
	s_and_b64 vcc, exec, s[8:9]
	v_pk_mov_b32 v[12:13], s[18:19], s[18:19] op_sel:[0,1]
	s_cbranch_vccnz .LBB20_3
; %bb.2:
	v_pk_mov_b32 v[0:1], s[16:17], s[16:17] op_sel:[0,1]
	flat_load_dwordx2 v[12:13], v[0:1] offset:8
.LBB20_3:
	s_bfe_u32 s11, s11, 0x10008
	s_cmp_eq_u32 s11, 0
	v_pk_mov_b32 v[14:15], v[10:11], v[10:11] op_sel:[0,1]
	s_cbranch_scc1 .LBB20_6
; %bb.4:
	s_mov_b64 s[16:17], src_private_base
	s_and_b64 s[18:19], s[4:5], exec
	s_cselect_b32 s11, s17, s25
	v_mov_b32_e32 v0, 0
	v_mov_b32_e32 v1, s24
	v_cndmask_b32_e64 v0, v1, v0, s[4:5]
	v_mov_b32_e32 v1, s11
	flat_load_dwordx2 v[14:15], v[0:1]
	s_and_b64 vcc, exec, s[8:9]
	v_pk_mov_b32 v[10:11], s[26:27], s[26:27] op_sel:[0,1]
	s_cbranch_vccnz .LBB20_6
; %bb.5:
	v_pk_mov_b32 v[0:1], s[24:25], s[24:25] op_sel:[0,1]
	flat_load_dwordx2 v[10:11], v[0:1] offset:8
.LBB20_6:
	s_lshl_b32 s4, s10, 3
	v_lshrrev_b32_e32 v0, 5, v22
	s_and_b32 s4, s4, 0x7fffff8
	v_or_b32_e32 v0, s4, v0
	v_mov_b32_e32 v1, 0
	v_cmp_gt_i64_e32 vcc, s[12:13], v[0:1]
	s_and_saveexec_b64 s[4:5], vcc
	s_cbranch_execz .LBB20_35
; %bb.7:
	s_load_dwordx4 s[8:11], s[6:7], 0x20
	s_load_dwordx2 s[4:5], s[6:7], 0x48
	s_load_dwordx2 s[12:13], s[6:7], 0x60
	v_lshlrev_b32_e32 v18, 3, v0
	s_waitcnt lgkmcnt(0)
	global_load_dwordx4 v[0:3], v18, s[8:9]
	global_load_dwordx4 v[4:7], v18, s[4:5]
	global_load_dwordx2 v[16:17], v18, s[12:13]
	s_mov_b32 s9, 0
	s_mov_b32 s8, s20
	s_waitcnt vmcnt(0)
	v_subrev_co_u32_e32 v18, vcc, s20, v0
	v_subbrev_co_u32_e32 v19, vcc, 0, v1, vcc
	v_cmp_ge_i64_e32 vcc, v[0:1], v[2:3]
	s_and_saveexec_b64 s[4:5], vcc
	s_xor_b64 s[4:5], exec, s[4:5]
	s_or_saveexec_b64 s[4:5], s[4:5]
	v_mov_b32_e32 v0, s14
	s_xor_b64 exec, exec, s[4:5]
	s_cbranch_execz .LBB20_9
; %bb.8:
	v_lshlrev_b64 v[0:1], 2, v[18:19]
	v_mov_b32_e32 v20, s11
	v_add_co_u32_e32 v0, vcc, s10, v0
	v_addc_co_u32_e32 v1, vcc, v20, v1, vcc
	global_load_dword v0, v[0:1], off
	s_waitcnt vmcnt(0)
	v_subrev_u32_e32 v0, s20, v0
.LBB20_9:
	s_or_b64 exec, exec, s[4:5]
	s_load_dwordx4 s[24:27], s[6:7], 0x68
	s_load_dwordx4 s[16:19], s[6:7], 0x50
	s_load_dwordx2 s[4:5], s[6:7], 0x30
	v_subrev_co_u32_e32 v20, vcc, s21, v4
	v_subbrev_co_u32_e32 v21, vcc, 0, v5, vcc
	s_mov_b32 s12, 0
	s_mov_b32 s13, s21
	v_cmp_ge_i64_e32 vcc, v[4:5], v[6:7]
	s_and_saveexec_b64 s[6:7], vcc
	s_xor_b64 s[6:7], exec, s[6:7]
	s_or_saveexec_b64 s[6:7], s[6:7]
	v_mov_b32_e32 v28, s14
	v_mov_b32_e32 v1, s14
	s_xor_b64 exec, exec, s[6:7]
	s_cbranch_execz .LBB20_11
; %bb.10:
	v_lshlrev_b64 v[4:5], 2, v[20:21]
	s_waitcnt lgkmcnt(0)
	v_mov_b32_e32 v1, s17
	v_add_co_u32_e32 v4, vcc, s16, v4
	v_addc_co_u32_e32 v5, vcc, v1, v5, vcc
	global_load_dword v1, v[4:5], off
	v_mov_b32_e32 v28, s14
	s_waitcnt vmcnt(0)
	v_subrev_u32_e32 v1, s21, v1
.LBB20_11:
	s_or_b64 exec, exec, s[6:7]
	v_and_b32_e32 v4, 0xe0, v22
	v_or_b32_e32 v29, 0x1000, v4
	v_lshlrev_b32_e32 v30, 4, v4
	v_mov_b32_e32 v5, s9
	v_subrev_co_u32_e32 v4, vcc, s8, v2
	v_subb_co_u32_e32 v5, vcc, v3, v5, vcc
	v_mov_b32_e32 v2, s12
	v_subrev_co_u32_e32 v6, vcc, s13, v6
	v_subb_co_u32_e32 v7, vcc, v7, v2, vcc
	v_subrev_co_u32_e32 v16, vcc, s22, v16
	v_subbrev_co_u32_e32 v17, vcc, 0, v17, vcc
	v_and_b32_e32 v2, 31, v22
	v_min_i32_e32 v22, v1, v0
	v_add_co_u32_e32 v18, vcc, v18, v2
	v_mbcnt_lo_u32_b32 v1, -1, 0
	v_addc_co_u32_e32 v19, vcc, 0, v19, vcc
	v_mbcnt_hi_u32_b32 v1, -1, v1
	v_add_co_u32_e32 v20, vcc, v20, v2
	v_and_b32_e32 v3, 64, v1
	v_xor_b32_e32 v23, 31, v2
	v_addc_co_u32_e32 v21, vcc, 0, v21, vcc
	v_add_u32_e32 v3, 64, v3
	v_lshrrev_b32_e64 v32, v23, -1
	v_xor_b32_e32 v23, 16, v1
	v_cmp_lt_i32_e32 vcc, v23, v3
	v_cndmask_b32_e32 v23, v1, v23, vcc
	v_lshlrev_b32_e32 v34, 2, v23
	v_xor_b32_e32 v23, 8, v1
	v_cmp_lt_i32_e32 vcc, v23, v3
	v_cndmask_b32_e32 v23, v1, v23, vcc
	v_lshlrev_b32_e32 v35, 2, v23
	v_xor_b32_e32 v23, 4, v1
	v_cmp_lt_i32_e32 vcc, v23, v3
	v_add_u32_e32 v33, s22, v2
	v_cndmask_b32_e32 v23, v1, v23, vcc
	s_waitcnt lgkmcnt(0)
	s_add_u32 s22, s24, -4
	v_lshlrev_b32_e32 v36, 2, v23
	v_xor_b32_e32 v23, 2, v1
	s_addc_u32 s23, s25, -1
	v_cmp_lt_i32_e32 vcc, v23, v3
	s_add_u32 s24, s26, -16
	v_cndmask_b32_e32 v23, v1, v23, vcc
	s_addc_u32 s25, s27, -1
	v_lshlrev_b32_e32 v37, 2, v23
	v_xor_b32_e32 v23, 1, v1
	s_add_u32 s26, s4, 8
	v_cmp_lt_i32_e32 vcc, v23, v3
	s_addc_u32 s27, s5, 0
	v_mov_b32_e32 v0, 0
	v_cndmask_b32_e32 v1, v1, v23, vcc
	s_add_u32 s28, s18, 8
	v_lshl_or_b32 v31, v2, 4, v30
	v_lshlrev_b32_e32 v38, 2, v1
	s_addc_u32 s29, s19, 0
	s_mov_b64 s[6:7], 0
	v_add_u32_e32 v39, v29, v2
	v_mov_b32_e32 v1, v0
	v_mov_b32_e32 v2, v0
	;; [unrolled: 1-line block ×4, first 2 shown]
	s_branch .LBB20_13
.LBB20_12:                              ;   in Loop: Header=BB20_13 Depth=1
	s_or_b64 exec, exec, s[8:9]
	ds_bpermute_b32 v22, v34, v23
	s_bcnt1_i32_b64 s4, vcc
	s_waitcnt lgkmcnt(0)
	v_min_i32_e32 v22, v22, v23
	ds_bpermute_b32 v23, v35, v22
	s_waitcnt lgkmcnt(0)
	v_min_i32_e32 v22, v23, v22
	ds_bpermute_b32 v23, v36, v22
	;; [unrolled: 3-line block ×4, first 2 shown]
	s_waitcnt lgkmcnt(0)
	v_min_i32_e32 v22, v23, v22
	v_ashrrev_i32_e32 v23, 31, v22
	v_cmp_le_i64_e32 vcc, s[14:15], v[22:23]
	s_or_b64 s[6:7], vcc, s[6:7]
	v_add_co_u32_e32 v16, vcc, s4, v16
	v_addc_co_u32_e32 v17, vcc, 0, v17, vcc
	s_andn2_b64 exec, exec, s[6:7]
	s_cbranch_execz .LBB20_35
.LBB20_13:                              ; =>This Loop Header: Depth=1
                                        ;     Child Loop BB20_16 Depth 2
                                        ;     Child Loop BB20_26 Depth 2
	v_cmp_lt_i64_e32 vcc, v[18:19], v[4:5]
	v_mov_b32_e32 v23, v28
	ds_write_b8 v39, v0
	ds_write_b128 v31, v[0:3]
	s_waitcnt lgkmcnt(0)
	s_and_saveexec_b64 s[8:9], vcc
	s_cbranch_execz .LBB20_23
; %bb.14:                               ;   in Loop: Header=BB20_13 Depth=1
	v_lshlrev_b64 v[24:25], 2, v[18:19]
	v_mov_b32_e32 v23, s11
	v_add_co_u32_e32 v24, vcc, s10, v24
	v_addc_co_u32_e32 v25, vcc, v23, v25, vcc
	v_lshlrev_b64 v[26:27], 4, v[18:19]
	v_mov_b32_e32 v23, s27
	v_add_co_u32_e32 v26, vcc, s26, v26
	v_addc_co_u32_e32 v27, vcc, v23, v27, vcc
	s_mov_b64 s[12:13], 0
	v_mov_b32_e32 v23, v28
	s_branch .LBB20_16
.LBB20_15:                              ;   in Loop: Header=BB20_16 Depth=2
	s_or_b64 exec, exec, s[4:5]
	s_and_b64 s[4:5], exec, s[18:19]
	s_or_b64 s[12:13], s[4:5], s[12:13]
	s_andn2_b64 exec, exec, s[12:13]
	s_cbranch_execz .LBB20_22
.LBB20_16:                              ;   Parent Loop BB20_13 Depth=1
                                        ; =>  This Inner Loop Header: Depth=2
	global_load_dword v41, v[24:25], off
	s_waitcnt vmcnt(0)
	v_subrev_u32_e32 v42, s20, v41
	v_sub_u32_e32 v41, v42, v22
	v_cmp_gt_u32_e32 vcc, 32, v41
	v_cmp_lt_u32_e64 s[4:5], 31, v41
	s_and_saveexec_b64 s[18:19], s[4:5]
	s_xor_b64 s[4:5], exec, s[18:19]
	s_cbranch_execnz .LBB20_19
; %bb.17:                               ;   in Loop: Header=BB20_16 Depth=2
	s_andn2_saveexec_b64 s[4:5], s[4:5]
	s_cbranch_execnz .LBB20_20
.LBB20_18:                              ;   in Loop: Header=BB20_16 Depth=2
	s_or_b64 exec, exec, s[4:5]
	s_mov_b64 s[18:19], -1
	s_and_saveexec_b64 s[4:5], vcc
	s_cbranch_execz .LBB20_15
	s_branch .LBB20_21
.LBB20_19:                              ;   in Loop: Header=BB20_16 Depth=2
	v_min_i32_e32 v23, v42, v23
                                        ; implicit-def: $vgpr41
	s_andn2_saveexec_b64 s[4:5], s[4:5]
	s_cbranch_execz .LBB20_18
.LBB20_20:                              ;   in Loop: Header=BB20_16 Depth=2
	global_load_dwordx4 v[42:45], v[26:27], off offset:-8
	v_add_u32_e32 v46, v29, v41
	ds_write_b8 v46, v40
	v_lshl_add_u32 v41, v41, 4, v30
	s_waitcnt vmcnt(0)
	v_mul_f64 v[46:47], v[44:45], -v[12:13]
	v_mul_f64 v[48:49], v[8:9], v[44:45]
	v_fmac_f64_e32 v[46:47], v[8:9], v[42:43]
	v_fmac_f64_e32 v[48:49], v[12:13], v[42:43]
	ds_write_b128 v41, v[46:49]
	s_or_b64 exec, exec, s[4:5]
	s_mov_b64 s[18:19], -1
	s_and_saveexec_b64 s[4:5], vcc
	s_cbranch_execz .LBB20_15
.LBB20_21:                              ;   in Loop: Header=BB20_16 Depth=2
	v_add_co_u32_e32 v18, vcc, 32, v18
	v_addc_co_u32_e32 v19, vcc, 0, v19, vcc
	v_add_co_u32_e32 v24, vcc, 0x80, v24
	v_addc_co_u32_e32 v25, vcc, 0, v25, vcc
	;; [unrolled: 2-line block ×3, first 2 shown]
	v_cmp_ge_i64_e32 vcc, v[18:19], v[4:5]
	s_orn2_b64 s[18:19], vcc, exec
	s_branch .LBB20_15
.LBB20_22:                              ;   in Loop: Header=BB20_13 Depth=1
	s_or_b64 exec, exec, s[12:13]
.LBB20_23:                              ;   in Loop: Header=BB20_13 Depth=1
	s_or_b64 exec, exec, s[8:9]
	v_cmp_lt_i64_e32 vcc, v[20:21], v[6:7]
	s_waitcnt lgkmcnt(0)
	s_and_saveexec_b64 s[8:9], vcc
	s_cbranch_execz .LBB20_33
; %bb.24:                               ;   in Loop: Header=BB20_13 Depth=1
	v_lshlrev_b64 v[24:25], 2, v[20:21]
	v_mov_b32_e32 v26, s17
	v_add_co_u32_e32 v24, vcc, s16, v24
	v_addc_co_u32_e32 v25, vcc, v26, v25, vcc
	v_lshlrev_b64 v[26:27], 4, v[20:21]
	v_mov_b32_e32 v41, s29
	v_add_co_u32_e32 v26, vcc, s28, v26
	v_addc_co_u32_e32 v27, vcc, v41, v27, vcc
	s_mov_b64 s[12:13], 0
	s_branch .LBB20_26
.LBB20_25:                              ;   in Loop: Header=BB20_26 Depth=2
	s_or_b64 exec, exec, s[4:5]
	s_and_b64 s[4:5], exec, s[18:19]
	s_or_b64 s[12:13], s[4:5], s[12:13]
	s_andn2_b64 exec, exec, s[12:13]
	s_cbranch_execz .LBB20_32
.LBB20_26:                              ;   Parent Loop BB20_13 Depth=1
                                        ; =>  This Inner Loop Header: Depth=2
	global_load_dword v41, v[24:25], off
	s_waitcnt vmcnt(0)
	v_subrev_u32_e32 v42, s21, v41
	v_sub_u32_e32 v41, v42, v22
	v_cmp_gt_u32_e32 vcc, 32, v41
	v_cmp_lt_u32_e64 s[4:5], 31, v41
	s_and_saveexec_b64 s[18:19], s[4:5]
	s_xor_b64 s[4:5], exec, s[18:19]
	s_cbranch_execnz .LBB20_29
; %bb.27:                               ;   in Loop: Header=BB20_26 Depth=2
	s_andn2_saveexec_b64 s[4:5], s[4:5]
	s_cbranch_execnz .LBB20_30
.LBB20_28:                              ;   in Loop: Header=BB20_26 Depth=2
	s_or_b64 exec, exec, s[4:5]
	s_mov_b64 s[18:19], -1
	s_and_saveexec_b64 s[4:5], vcc
	s_cbranch_execz .LBB20_25
	s_branch .LBB20_31
.LBB20_29:                              ;   in Loop: Header=BB20_26 Depth=2
	v_min_i32_e32 v23, v42, v23
                                        ; implicit-def: $vgpr41
	s_andn2_saveexec_b64 s[4:5], s[4:5]
	s_cbranch_execz .LBB20_28
.LBB20_30:                              ;   in Loop: Header=BB20_26 Depth=2
	global_load_dwordx4 v[42:45], v[26:27], off offset:-8
	v_lshl_add_u32 v50, v41, 4, v30
	ds_read_b128 v[46:49], v50
	v_add_u32_e32 v41, v29, v41
	ds_write_b8 v41, v40
	s_waitcnt vmcnt(0) lgkmcnt(1)
	v_fmac_f64_e32 v[46:47], v[14:15], v[42:43]
	v_fmac_f64_e32 v[48:49], v[10:11], v[42:43]
	v_fma_f64 v[46:47], -v[10:11], v[44:45], v[46:47]
	v_fmac_f64_e32 v[48:49], v[14:15], v[44:45]
	ds_write_b128 v50, v[46:49]
	s_or_b64 exec, exec, s[4:5]
	s_mov_b64 s[18:19], -1
	s_and_saveexec_b64 s[4:5], vcc
	s_cbranch_execz .LBB20_25
.LBB20_31:                              ;   in Loop: Header=BB20_26 Depth=2
	v_add_co_u32_e32 v20, vcc, 32, v20
	v_addc_co_u32_e32 v21, vcc, 0, v21, vcc
	v_add_co_u32_e32 v24, vcc, 0x80, v24
	v_addc_co_u32_e32 v25, vcc, 0, v25, vcc
	;; [unrolled: 2-line block ×3, first 2 shown]
	v_cmp_ge_i64_e32 vcc, v[20:21], v[6:7]
	s_orn2_b64 s[18:19], vcc, exec
	s_branch .LBB20_25
.LBB20_32:                              ;   in Loop: Header=BB20_13 Depth=1
	s_or_b64 exec, exec, s[12:13]
.LBB20_33:                              ;   in Loop: Header=BB20_13 Depth=1
	s_or_b64 exec, exec, s[8:9]
	s_waitcnt lgkmcnt(0)
	ds_read_u8 v24, v39
	s_waitcnt lgkmcnt(0)
	v_and_b32_e32 v25, 1, v24
	v_cmp_eq_u32_e64 s[4:5], 1, v25
	v_cmp_ne_u16_e32 vcc, 0, v24
	s_and_saveexec_b64 s[8:9], s[4:5]
	s_cbranch_execz .LBB20_12
; %bb.34:                               ;   in Loop: Header=BB20_13 Depth=1
	v_and_b32_e32 v24, vcc_lo, v32
	v_bcnt_u32_b32 v24, v24, 0
	v_add_co_u32_e64 v24, s[4:5], v16, v24
	v_addc_co_u32_e64 v25, s[4:5], 0, v17, s[4:5]
	v_lshlrev_b64 v[26:27], 2, v[24:25]
	v_mov_b32_e32 v41, s23
	v_add_co_u32_e64 v26, s[4:5], s22, v26
	v_add_u32_e32 v22, v33, v22
	v_addc_co_u32_e64 v27, s[4:5], v41, v27, s[4:5]
	global_store_dword v[26:27], v22, off
	v_lshlrev_b64 v[42:43], 4, v[24:25]
	ds_read2_b64 v[24:27], v31 offset1:1
	v_mov_b32_e32 v22, s25
	v_add_co_u32_e64 v42, s[4:5], s24, v42
	v_addc_co_u32_e64 v43, s[4:5], v22, v43, s[4:5]
	s_waitcnt lgkmcnt(0)
	global_store_dwordx4 v[42:43], v[24:27], off
	s_branch .LBB20_12
.LBB20_35:
	s_endpgm
	.section	.rodata,"a",@progbits
	.p2align	6, 0x0
	.amdhsa_kernel _ZN9rocsparseL29csrgeam_fill_multipass_kernelILj256ELj32Eli21rocsparse_complex_numIdEEEvllNS_24const_host_device_scalarIT3_EEPKT1_PKT2_PKS4_S5_S8_SB_SD_S8_PS9_PS4_21rocsparse_index_base_SG_SG_bbb
		.amdhsa_group_segment_fixed_size 6400
		.amdhsa_private_segment_fixed_size 16
		.amdhsa_kernarg_size 136
		.amdhsa_user_sgpr_count 10
		.amdhsa_user_sgpr_private_segment_buffer 1
		.amdhsa_user_sgpr_dispatch_ptr 1
		.amdhsa_user_sgpr_queue_ptr 0
		.amdhsa_user_sgpr_kernarg_segment_ptr 1
		.amdhsa_user_sgpr_dispatch_id 0
		.amdhsa_user_sgpr_flat_scratch_init 1
		.amdhsa_user_sgpr_kernarg_preload_length 0
		.amdhsa_user_sgpr_kernarg_preload_offset 0
		.amdhsa_user_sgpr_private_segment_size 0
		.amdhsa_uses_dynamic_stack 0
		.amdhsa_system_sgpr_private_segment_wavefront_offset 1
		.amdhsa_system_sgpr_workgroup_id_x 1
		.amdhsa_system_sgpr_workgroup_id_y 0
		.amdhsa_system_sgpr_workgroup_id_z 0
		.amdhsa_system_sgpr_workgroup_info 0
		.amdhsa_system_vgpr_workitem_id 2
		.amdhsa_next_free_vgpr 51
		.amdhsa_next_free_sgpr 32
		.amdhsa_accum_offset 52
		.amdhsa_reserve_vcc 1
		.amdhsa_reserve_flat_scratch 1
		.amdhsa_float_round_mode_32 0
		.amdhsa_float_round_mode_16_64 0
		.amdhsa_float_denorm_mode_32 3
		.amdhsa_float_denorm_mode_16_64 3
		.amdhsa_dx10_clamp 1
		.amdhsa_ieee_mode 1
		.amdhsa_fp16_overflow 0
		.amdhsa_tg_split 0
		.amdhsa_exception_fp_ieee_invalid_op 0
		.amdhsa_exception_fp_denorm_src 0
		.amdhsa_exception_fp_ieee_div_zero 0
		.amdhsa_exception_fp_ieee_overflow 0
		.amdhsa_exception_fp_ieee_underflow 0
		.amdhsa_exception_fp_ieee_inexact 0
		.amdhsa_exception_int_div_zero 0
	.end_amdhsa_kernel
	.section	.text._ZN9rocsparseL29csrgeam_fill_multipass_kernelILj256ELj32Eli21rocsparse_complex_numIdEEEvllNS_24const_host_device_scalarIT3_EEPKT1_PKT2_PKS4_S5_S8_SB_SD_S8_PS9_PS4_21rocsparse_index_base_SG_SG_bbb,"axG",@progbits,_ZN9rocsparseL29csrgeam_fill_multipass_kernelILj256ELj32Eli21rocsparse_complex_numIdEEEvllNS_24const_host_device_scalarIT3_EEPKT1_PKT2_PKS4_S5_S8_SB_SD_S8_PS9_PS4_21rocsparse_index_base_SG_SG_bbb,comdat
.Lfunc_end20:
	.size	_ZN9rocsparseL29csrgeam_fill_multipass_kernelILj256ELj32Eli21rocsparse_complex_numIdEEEvllNS_24const_host_device_scalarIT3_EEPKT1_PKT2_PKS4_S5_S8_SB_SD_S8_PS9_PS4_21rocsparse_index_base_SG_SG_bbb, .Lfunc_end20-_ZN9rocsparseL29csrgeam_fill_multipass_kernelILj256ELj32Eli21rocsparse_complex_numIdEEEvllNS_24const_host_device_scalarIT3_EEPKT1_PKT2_PKS4_S5_S8_SB_SD_S8_PS9_PS4_21rocsparse_index_base_SG_SG_bbb
                                        ; -- End function
	.section	.AMDGPU.csdata,"",@progbits
; Kernel info:
; codeLenInByte = 1868
; NumSgprs: 38
; NumVgprs: 51
; NumAgprs: 0
; TotalNumVgprs: 51
; ScratchSize: 16
; MemoryBound: 0
; FloatMode: 240
; IeeeMode: 1
; LDSByteSize: 6400 bytes/workgroup (compile time only)
; SGPRBlocks: 4
; VGPRBlocks: 6
; NumSGPRsForWavesPerEU: 38
; NumVGPRsForWavesPerEU: 51
; AccumOffset: 52
; Occupancy: 8
; WaveLimiterHint : 1
; COMPUTE_PGM_RSRC2:SCRATCH_EN: 1
; COMPUTE_PGM_RSRC2:USER_SGPR: 10
; COMPUTE_PGM_RSRC2:TRAP_HANDLER: 0
; COMPUTE_PGM_RSRC2:TGID_X_EN: 1
; COMPUTE_PGM_RSRC2:TGID_Y_EN: 0
; COMPUTE_PGM_RSRC2:TGID_Z_EN: 0
; COMPUTE_PGM_RSRC2:TIDIG_COMP_CNT: 2
; COMPUTE_PGM_RSRC3_GFX90A:ACCUM_OFFSET: 12
; COMPUTE_PGM_RSRC3_GFX90A:TG_SPLIT: 0
	.section	.text._ZN9rocsparseL29csrgeam_fill_multipass_kernelILj256ELj64Eli21rocsparse_complex_numIdEEEvllNS_24const_host_device_scalarIT3_EEPKT1_PKT2_PKS4_S5_S8_SB_SD_S8_PS9_PS4_21rocsparse_index_base_SG_SG_bbb,"axG",@progbits,_ZN9rocsparseL29csrgeam_fill_multipass_kernelILj256ELj64Eli21rocsparse_complex_numIdEEEvllNS_24const_host_device_scalarIT3_EEPKT1_PKT2_PKS4_S5_S8_SB_SD_S8_PS9_PS4_21rocsparse_index_base_SG_SG_bbb,comdat
	.globl	_ZN9rocsparseL29csrgeam_fill_multipass_kernelILj256ELj64Eli21rocsparse_complex_numIdEEEvllNS_24const_host_device_scalarIT3_EEPKT1_PKT2_PKS4_S5_S8_SB_SD_S8_PS9_PS4_21rocsparse_index_base_SG_SG_bbb ; -- Begin function _ZN9rocsparseL29csrgeam_fill_multipass_kernelILj256ELj64Eli21rocsparse_complex_numIdEEEvllNS_24const_host_device_scalarIT3_EEPKT1_PKT2_PKS4_S5_S8_SB_SD_S8_PS9_PS4_21rocsparse_index_base_SG_SG_bbb
	.p2align	8
	.type	_ZN9rocsparseL29csrgeam_fill_multipass_kernelILj256ELj64Eli21rocsparse_complex_numIdEEEvllNS_24const_host_device_scalarIT3_EEPKT1_PKT2_PKS4_S5_S8_SB_SD_S8_PS9_PS4_21rocsparse_index_base_SG_SG_bbb,@function
_ZN9rocsparseL29csrgeam_fill_multipass_kernelILj256ELj64Eli21rocsparse_complex_numIdEEEvllNS_24const_host_device_scalarIT3_EEPKT1_PKT2_PKS4_S5_S8_SB_SD_S8_PS9_PS4_21rocsparse_index_base_SG_SG_bbb: ; @_ZN9rocsparseL29csrgeam_fill_multipass_kernelILj256ELj64Eli21rocsparse_complex_numIdEEEvllNS_24const_host_device_scalarIT3_EEPKT1_PKT2_PKS4_S5_S8_SB_SD_S8_PS9_PS4_21rocsparse_index_base_SG_SG_bbb
; %bb.0:
	s_add_u32 flat_scratch_lo, s8, s11
	s_addc_u32 flat_scratch_hi, s9, 0
	s_add_u32 s0, s0, s11
	s_load_dword s11, s[6:7], 0x84
	s_load_dwordx8 s[12:19], s[6:7], 0x0
	s_load_dwordx2 s[8:9], s[4:5], 0x4
	s_load_dwordx4 s[24:27], s[6:7], 0x38
	s_load_dwordx4 s[20:23], s[6:7], 0x78
	s_addc_u32 s1, s1, 0
	s_waitcnt lgkmcnt(0)
	s_bitcmp1_b32 s11, 16
	s_cselect_b64 s[4:5], -1, 0
	s_lshr_b32 s8, s8, 16
	v_and_b32_e32 v22, 0x3ff, v0
	s_mul_i32 s8, s8, s9
	v_mul_lo_u32 v1, s8, v22
	v_bfe_u32 v2, v0, 10, 10
	v_mad_u32_u24 v1, v2, s9, v1
	v_bfe_u32 v0, v0, 20, 10
	v_add_lshl_u32 v0, v1, v0, 3
	v_mov_b32_e32 v1, s25
	buffer_store_dword v1, off, s[0:3], 0 offset:4
	v_mov_b32_e32 v1, s24
	s_xor_b64 s[8:9], s[4:5], -1
	buffer_store_dword v1, off, s[0:3], 0
	v_pk_mov_b32 v[10:11], 0, 0
	v_cndmask_b32_e64 v1, 0, 1, s[8:9]
	v_pk_mov_b32 v[2:3], s[16:17], s[16:17] op_sel:[0,1]
	s_bitcmp0_b32 s23, 0
	v_cmp_ne_u32_e64 s[8:9], 1, v1
	v_pk_mov_b32 v[8:9], v[10:11], v[10:11] op_sel:[0,1]
	v_pk_mov_b32 v[12:13], v[10:11], v[10:11] op_sel:[0,1]
	ds_write_b64 v0, v[2:3] offset:4352
	s_cbranch_scc1 .LBB21_3
; %bb.1:
	s_mov_b64 s[28:29], src_shared_base
	s_and_b64 s[30:31], s[4:5], exec
	v_add_u32_e32 v0, 0x1100, v0
	s_cselect_b32 s23, s29, s17
	v_mov_b32_e32 v1, s16
	v_cndmask_b32_e64 v0, v1, v0, s[4:5]
	v_mov_b32_e32 v1, s23
	flat_load_dwordx2 v[8:9], v[0:1]
	s_and_b64 vcc, exec, s[8:9]
	v_pk_mov_b32 v[12:13], s[18:19], s[18:19] op_sel:[0,1]
	s_cbranch_vccnz .LBB21_3
; %bb.2:
	v_pk_mov_b32 v[0:1], s[16:17], s[16:17] op_sel:[0,1]
	flat_load_dwordx2 v[12:13], v[0:1] offset:8
.LBB21_3:
	s_bfe_u32 s11, s11, 0x10008
	s_cmp_eq_u32 s11, 0
	v_pk_mov_b32 v[14:15], v[10:11], v[10:11] op_sel:[0,1]
	s_cbranch_scc1 .LBB21_6
; %bb.4:
	s_mov_b64 s[16:17], src_private_base
	s_and_b64 s[18:19], s[4:5], exec
	s_cselect_b32 s11, s17, s25
	v_mov_b32_e32 v0, 0
	v_mov_b32_e32 v1, s24
	v_cndmask_b32_e64 v0, v1, v0, s[4:5]
	v_mov_b32_e32 v1, s11
	flat_load_dwordx2 v[14:15], v[0:1]
	s_and_b64 vcc, exec, s[8:9]
	v_pk_mov_b32 v[10:11], s[26:27], s[26:27] op_sel:[0,1]
	s_cbranch_vccnz .LBB21_6
; %bb.5:
	v_pk_mov_b32 v[0:1], s[24:25], s[24:25] op_sel:[0,1]
	flat_load_dwordx2 v[10:11], v[0:1] offset:8
.LBB21_6:
	s_lshl_b32 s4, s10, 2
	v_lshrrev_b32_e32 v0, 6, v22
	s_and_b32 s4, s4, 0x3fffffc
	v_or_b32_e32 v0, s4, v0
	v_mov_b32_e32 v1, 0
	v_cmp_gt_i64_e32 vcc, s[12:13], v[0:1]
	s_and_saveexec_b64 s[4:5], vcc
	s_cbranch_execz .LBB21_35
; %bb.7:
	s_load_dwordx4 s[8:11], s[6:7], 0x20
	s_load_dwordx2 s[4:5], s[6:7], 0x48
	s_load_dwordx2 s[12:13], s[6:7], 0x60
	v_lshlrev_b32_e32 v18, 3, v0
	s_waitcnt lgkmcnt(0)
	global_load_dwordx4 v[0:3], v18, s[8:9]
	global_load_dwordx4 v[4:7], v18, s[4:5]
	global_load_dwordx2 v[16:17], v18, s[12:13]
	s_mov_b32 s9, 0
	s_mov_b32 s8, s20
	s_waitcnt vmcnt(0)
	v_subrev_co_u32_e32 v18, vcc, s20, v0
	v_subbrev_co_u32_e32 v19, vcc, 0, v1, vcc
	v_cmp_ge_i64_e32 vcc, v[0:1], v[2:3]
	s_and_saveexec_b64 s[4:5], vcc
	s_xor_b64 s[4:5], exec, s[4:5]
	s_or_saveexec_b64 s[4:5], s[4:5]
	v_mov_b32_e32 v0, s14
	s_xor_b64 exec, exec, s[4:5]
	s_cbranch_execz .LBB21_9
; %bb.8:
	v_lshlrev_b64 v[0:1], 2, v[18:19]
	v_mov_b32_e32 v20, s11
	v_add_co_u32_e32 v0, vcc, s10, v0
	v_addc_co_u32_e32 v1, vcc, v20, v1, vcc
	global_load_dword v0, v[0:1], off
	s_waitcnt vmcnt(0)
	v_subrev_u32_e32 v0, s20, v0
.LBB21_9:
	s_or_b64 exec, exec, s[4:5]
	s_load_dwordx4 s[24:27], s[6:7], 0x68
	s_load_dwordx4 s[16:19], s[6:7], 0x50
	s_load_dwordx2 s[4:5], s[6:7], 0x30
	v_subrev_co_u32_e32 v20, vcc, s21, v4
	v_subbrev_co_u32_e32 v21, vcc, 0, v5, vcc
	s_mov_b32 s12, 0
	s_mov_b32 s13, s21
	v_cmp_ge_i64_e32 vcc, v[4:5], v[6:7]
	s_and_saveexec_b64 s[6:7], vcc
	s_xor_b64 s[6:7], exec, s[6:7]
	s_or_saveexec_b64 s[6:7], s[6:7]
	v_mov_b32_e32 v30, s14
	v_mov_b32_e32 v1, s14
	s_xor_b64 exec, exec, s[6:7]
	s_cbranch_execz .LBB21_11
; %bb.10:
	v_lshlrev_b64 v[4:5], 2, v[20:21]
	s_waitcnt lgkmcnt(0)
	v_mov_b32_e32 v1, s17
	v_add_co_u32_e32 v4, vcc, s16, v4
	v_addc_co_u32_e32 v5, vcc, v1, v5, vcc
	global_load_dword v1, v[4:5], off
	v_mov_b32_e32 v30, s14
	s_waitcnt vmcnt(0)
	v_subrev_u32_e32 v1, s21, v1
.LBB21_11:
	s_or_b64 exec, exec, s[6:7]
	v_and_b32_e32 v4, 0xc0, v22
	v_or_b32_e32 v31, 0x1000, v4
	v_lshlrev_b32_e32 v32, 4, v4
	v_mov_b32_e32 v5, s9
	v_subrev_co_u32_e32 v4, vcc, s8, v2
	v_subb_co_u32_e32 v5, vcc, v3, v5, vcc
	v_mov_b32_e32 v2, s12
	v_subrev_co_u32_e32 v6, vcc, s13, v6
	v_subb_co_u32_e32 v7, vcc, v7, v2, vcc
	v_subrev_co_u32_e32 v16, vcc, s22, v16
	v_subbrev_co_u32_e32 v17, vcc, 0, v17, vcc
	v_and_b32_e32 v2, 63, v22
	v_min_i32_e32 v24, v1, v0
	v_add_co_u32_e32 v18, vcc, v18, v2
	v_mbcnt_lo_u32_b32 v1, -1, 0
	v_addc_co_u32_e32 v19, vcc, 0, v19, vcc
	v_mbcnt_hi_u32_b32 v1, -1, v1
	v_add_co_u32_e32 v20, vcc, v20, v2
	v_and_b32_e32 v3, 64, v1
	v_addc_co_u32_e32 v21, vcc, 0, v21, vcc
	v_add_u32_e32 v3, 64, v3
	v_xor_b32_e32 v25, 32, v1
	v_cmp_lt_i32_e32 vcc, v25, v3
	v_cndmask_b32_e32 v25, v1, v25, vcc
	v_lshlrev_b32_e32 v35, 2, v25
	v_xor_b32_e32 v25, 16, v1
	v_cmp_lt_i32_e32 vcc, v25, v3
	v_cndmask_b32_e32 v25, v1, v25, vcc
	v_lshlrev_b32_e32 v36, 2, v25
	;; [unrolled: 4-line block ×3, first 2 shown]
	v_xor_b32_e32 v25, 4, v1
	v_cmp_lt_i32_e32 vcc, v25, v3
	v_add_u32_e32 v34, s22, v2
	v_cndmask_b32_e32 v25, v1, v25, vcc
	s_waitcnt lgkmcnt(0)
	s_add_u32 s22, s24, -4
	v_lshlrev_b32_e32 v38, 2, v25
	v_xor_b32_e32 v25, 2, v1
	s_addc_u32 s23, s25, -1
	v_cmp_lt_i32_e32 vcc, v25, v3
	s_add_u32 s24, s26, -16
	v_cndmask_b32_e32 v25, v1, v25, vcc
	s_addc_u32 s25, s27, -1
	v_lshlrev_b32_e32 v39, 2, v25
	v_xor_b32_e32 v25, 1, v1
	s_add_u32 s26, s4, 8
	v_cmp_lt_i32_e32 vcc, v25, v3
	s_addc_u32 s27, s5, 0
	v_mov_b32_e32 v0, 0
	v_xor_b32_e32 v22, 63, v2
	v_cndmask_b32_e32 v1, v1, v25, vcc
	s_add_u32 s28, s18, 8
	v_lshl_or_b32 v33, v2, 4, v32
	v_lshrrev_b64 v[22:23], v22, -1
	v_lshlrev_b32_e32 v40, 2, v1
	s_addc_u32 s29, s19, 0
	s_mov_b64 s[6:7], 0
	v_add_u32_e32 v41, v31, v2
	v_mov_b32_e32 v1, v0
	v_mov_b32_e32 v2, v0
	;; [unrolled: 1-line block ×4, first 2 shown]
	s_branch .LBB21_13
.LBB21_12:                              ;   in Loop: Header=BB21_13 Depth=1
	s_or_b64 exec, exec, s[8:9]
	ds_bpermute_b32 v24, v35, v25
	s_bcnt1_i32_b64 s4, vcc
	s_waitcnt lgkmcnt(0)
	v_min_i32_e32 v24, v24, v25
	ds_bpermute_b32 v25, v36, v24
	s_waitcnt lgkmcnt(0)
	v_min_i32_e32 v24, v25, v24
	ds_bpermute_b32 v25, v37, v24
	;; [unrolled: 3-line block ×5, first 2 shown]
	s_waitcnt lgkmcnt(0)
	v_min_i32_e32 v24, v25, v24
	v_ashrrev_i32_e32 v25, 31, v24
	v_cmp_le_i64_e32 vcc, s[14:15], v[24:25]
	s_or_b64 s[6:7], vcc, s[6:7]
	v_add_co_u32_e32 v16, vcc, s4, v16
	v_addc_co_u32_e32 v17, vcc, 0, v17, vcc
	s_andn2_b64 exec, exec, s[6:7]
	s_cbranch_execz .LBB21_35
.LBB21_13:                              ; =>This Loop Header: Depth=1
                                        ;     Child Loop BB21_16 Depth 2
                                        ;     Child Loop BB21_26 Depth 2
	v_cmp_lt_i64_e32 vcc, v[18:19], v[4:5]
	v_mov_b32_e32 v25, v30
	ds_write_b8 v41, v0
	ds_write_b128 v33, v[0:3]
	s_waitcnt lgkmcnt(0)
	s_and_saveexec_b64 s[8:9], vcc
	s_cbranch_execz .LBB21_23
; %bb.14:                               ;   in Loop: Header=BB21_13 Depth=1
	v_lshlrev_b64 v[26:27], 2, v[18:19]
	v_mov_b32_e32 v25, s11
	v_add_co_u32_e32 v26, vcc, s10, v26
	v_addc_co_u32_e32 v27, vcc, v25, v27, vcc
	v_lshlrev_b64 v[28:29], 4, v[18:19]
	v_mov_b32_e32 v25, s27
	v_add_co_u32_e32 v28, vcc, s26, v28
	v_addc_co_u32_e32 v29, vcc, v25, v29, vcc
	s_mov_b64 s[12:13], 0
	v_mov_b32_e32 v25, v30
	s_branch .LBB21_16
.LBB21_15:                              ;   in Loop: Header=BB21_16 Depth=2
	s_or_b64 exec, exec, s[4:5]
	s_and_b64 s[4:5], exec, s[18:19]
	s_or_b64 s[12:13], s[4:5], s[12:13]
	s_andn2_b64 exec, exec, s[12:13]
	s_cbranch_execz .LBB21_22
.LBB21_16:                              ;   Parent Loop BB21_13 Depth=1
                                        ; =>  This Inner Loop Header: Depth=2
	global_load_dword v43, v[26:27], off
	s_waitcnt vmcnt(0)
	v_subrev_u32_e32 v44, s20, v43
	v_sub_u32_e32 v43, v44, v24
	v_cmp_gt_u32_e32 vcc, 64, v43
	v_cmp_lt_u32_e64 s[4:5], 63, v43
	s_and_saveexec_b64 s[18:19], s[4:5]
	s_xor_b64 s[4:5], exec, s[18:19]
	s_cbranch_execnz .LBB21_19
; %bb.17:                               ;   in Loop: Header=BB21_16 Depth=2
	s_andn2_saveexec_b64 s[4:5], s[4:5]
	s_cbranch_execnz .LBB21_20
.LBB21_18:                              ;   in Loop: Header=BB21_16 Depth=2
	s_or_b64 exec, exec, s[4:5]
	s_mov_b64 s[18:19], -1
	s_and_saveexec_b64 s[4:5], vcc
	s_cbranch_execz .LBB21_15
	s_branch .LBB21_21
.LBB21_19:                              ;   in Loop: Header=BB21_16 Depth=2
	v_min_i32_e32 v25, v44, v25
                                        ; implicit-def: $vgpr43
	s_andn2_saveexec_b64 s[4:5], s[4:5]
	s_cbranch_execz .LBB21_18
.LBB21_20:                              ;   in Loop: Header=BB21_16 Depth=2
	global_load_dwordx4 v[44:47], v[28:29], off offset:-8
	v_add_u32_e32 v48, v31, v43
	ds_write_b8 v48, v42
	v_lshl_add_u32 v43, v43, 4, v32
	s_waitcnt vmcnt(0)
	v_mul_f64 v[48:49], v[46:47], -v[12:13]
	v_mul_f64 v[50:51], v[8:9], v[46:47]
	v_fmac_f64_e32 v[48:49], v[8:9], v[44:45]
	v_fmac_f64_e32 v[50:51], v[12:13], v[44:45]
	ds_write_b128 v43, v[48:51]
	s_or_b64 exec, exec, s[4:5]
	s_mov_b64 s[18:19], -1
	s_and_saveexec_b64 s[4:5], vcc
	s_cbranch_execz .LBB21_15
.LBB21_21:                              ;   in Loop: Header=BB21_16 Depth=2
	v_add_co_u32_e32 v18, vcc, 64, v18
	v_addc_co_u32_e32 v19, vcc, 0, v19, vcc
	v_add_co_u32_e32 v26, vcc, 0x100, v26
	v_addc_co_u32_e32 v27, vcc, 0, v27, vcc
	;; [unrolled: 2-line block ×3, first 2 shown]
	v_cmp_ge_i64_e32 vcc, v[18:19], v[4:5]
	s_orn2_b64 s[18:19], vcc, exec
	s_branch .LBB21_15
.LBB21_22:                              ;   in Loop: Header=BB21_13 Depth=1
	s_or_b64 exec, exec, s[12:13]
.LBB21_23:                              ;   in Loop: Header=BB21_13 Depth=1
	s_or_b64 exec, exec, s[8:9]
	v_cmp_lt_i64_e32 vcc, v[20:21], v[6:7]
	s_waitcnt lgkmcnt(0)
	s_and_saveexec_b64 s[8:9], vcc
	s_cbranch_execz .LBB21_33
; %bb.24:                               ;   in Loop: Header=BB21_13 Depth=1
	v_lshlrev_b64 v[26:27], 2, v[20:21]
	v_mov_b32_e32 v28, s17
	v_add_co_u32_e32 v26, vcc, s16, v26
	v_addc_co_u32_e32 v27, vcc, v28, v27, vcc
	v_lshlrev_b64 v[28:29], 4, v[20:21]
	v_mov_b32_e32 v43, s29
	v_add_co_u32_e32 v28, vcc, s28, v28
	v_addc_co_u32_e32 v29, vcc, v43, v29, vcc
	s_mov_b64 s[12:13], 0
	s_branch .LBB21_26
.LBB21_25:                              ;   in Loop: Header=BB21_26 Depth=2
	s_or_b64 exec, exec, s[4:5]
	s_and_b64 s[4:5], exec, s[18:19]
	s_or_b64 s[12:13], s[4:5], s[12:13]
	s_andn2_b64 exec, exec, s[12:13]
	s_cbranch_execz .LBB21_32
.LBB21_26:                              ;   Parent Loop BB21_13 Depth=1
                                        ; =>  This Inner Loop Header: Depth=2
	global_load_dword v43, v[26:27], off
	s_waitcnt vmcnt(0)
	v_subrev_u32_e32 v44, s21, v43
	v_sub_u32_e32 v43, v44, v24
	v_cmp_gt_u32_e32 vcc, 64, v43
	v_cmp_lt_u32_e64 s[4:5], 63, v43
	s_and_saveexec_b64 s[18:19], s[4:5]
	s_xor_b64 s[4:5], exec, s[18:19]
	s_cbranch_execnz .LBB21_29
; %bb.27:                               ;   in Loop: Header=BB21_26 Depth=2
	s_andn2_saveexec_b64 s[4:5], s[4:5]
	s_cbranch_execnz .LBB21_30
.LBB21_28:                              ;   in Loop: Header=BB21_26 Depth=2
	s_or_b64 exec, exec, s[4:5]
	s_mov_b64 s[18:19], -1
	s_and_saveexec_b64 s[4:5], vcc
	s_cbranch_execz .LBB21_25
	s_branch .LBB21_31
.LBB21_29:                              ;   in Loop: Header=BB21_26 Depth=2
	v_min_i32_e32 v25, v44, v25
                                        ; implicit-def: $vgpr43
	s_andn2_saveexec_b64 s[4:5], s[4:5]
	s_cbranch_execz .LBB21_28
.LBB21_30:                              ;   in Loop: Header=BB21_26 Depth=2
	global_load_dwordx4 v[44:47], v[28:29], off offset:-8
	v_lshl_add_u32 v52, v43, 4, v32
	ds_read_b128 v[48:51], v52
	v_add_u32_e32 v43, v31, v43
	ds_write_b8 v43, v42
	s_waitcnt vmcnt(0) lgkmcnt(1)
	v_fmac_f64_e32 v[48:49], v[14:15], v[44:45]
	v_fmac_f64_e32 v[50:51], v[10:11], v[44:45]
	v_fma_f64 v[48:49], -v[10:11], v[46:47], v[48:49]
	v_fmac_f64_e32 v[50:51], v[14:15], v[46:47]
	ds_write_b128 v52, v[48:51]
	s_or_b64 exec, exec, s[4:5]
	s_mov_b64 s[18:19], -1
	s_and_saveexec_b64 s[4:5], vcc
	s_cbranch_execz .LBB21_25
.LBB21_31:                              ;   in Loop: Header=BB21_26 Depth=2
	v_add_co_u32_e32 v20, vcc, 64, v20
	v_addc_co_u32_e32 v21, vcc, 0, v21, vcc
	v_add_co_u32_e32 v26, vcc, 0x100, v26
	v_addc_co_u32_e32 v27, vcc, 0, v27, vcc
	;; [unrolled: 2-line block ×3, first 2 shown]
	v_cmp_ge_i64_e32 vcc, v[20:21], v[6:7]
	s_orn2_b64 s[18:19], vcc, exec
	s_branch .LBB21_25
.LBB21_32:                              ;   in Loop: Header=BB21_13 Depth=1
	s_or_b64 exec, exec, s[12:13]
.LBB21_33:                              ;   in Loop: Header=BB21_13 Depth=1
	s_or_b64 exec, exec, s[8:9]
	s_waitcnt lgkmcnt(0)
	ds_read_u8 v26, v41
	s_waitcnt lgkmcnt(0)
	v_and_b32_e32 v27, 1, v26
	v_cmp_eq_u32_e64 s[4:5], 1, v27
	v_cmp_ne_u16_e32 vcc, 0, v26
	s_and_saveexec_b64 s[8:9], s[4:5]
	s_cbranch_execz .LBB21_12
; %bb.34:                               ;   in Loop: Header=BB21_13 Depth=1
	v_and_b32_e32 v27, vcc_lo, v22
	v_and_b32_e32 v26, vcc_hi, v23
	v_bcnt_u32_b32 v27, v27, 0
	v_bcnt_u32_b32 v26, v26, v27
	v_add_co_u32_e64 v26, s[4:5], v16, v26
	v_addc_co_u32_e64 v27, s[4:5], 0, v17, s[4:5]
	v_lshlrev_b64 v[28:29], 2, v[26:27]
	v_mov_b32_e32 v43, s23
	v_add_co_u32_e64 v28, s[4:5], s22, v28
	v_add_u32_e32 v24, v34, v24
	v_addc_co_u32_e64 v29, s[4:5], v43, v29, s[4:5]
	global_store_dword v[28:29], v24, off
	v_lshlrev_b64 v[44:45], 4, v[26:27]
	ds_read2_b64 v[26:29], v33 offset1:1
	v_mov_b32_e32 v24, s25
	v_add_co_u32_e64 v44, s[4:5], s24, v44
	v_addc_co_u32_e64 v45, s[4:5], v24, v45, s[4:5]
	s_waitcnt lgkmcnt(0)
	global_store_dwordx4 v[44:45], v[26:29], off
	s_branch .LBB21_12
.LBB21_35:
	s_endpgm
	.section	.rodata,"a",@progbits
	.p2align	6, 0x0
	.amdhsa_kernel _ZN9rocsparseL29csrgeam_fill_multipass_kernelILj256ELj64Eli21rocsparse_complex_numIdEEEvllNS_24const_host_device_scalarIT3_EEPKT1_PKT2_PKS4_S5_S8_SB_SD_S8_PS9_PS4_21rocsparse_index_base_SG_SG_bbb
		.amdhsa_group_segment_fixed_size 6400
		.amdhsa_private_segment_fixed_size 16
		.amdhsa_kernarg_size 136
		.amdhsa_user_sgpr_count 10
		.amdhsa_user_sgpr_private_segment_buffer 1
		.amdhsa_user_sgpr_dispatch_ptr 1
		.amdhsa_user_sgpr_queue_ptr 0
		.amdhsa_user_sgpr_kernarg_segment_ptr 1
		.amdhsa_user_sgpr_dispatch_id 0
		.amdhsa_user_sgpr_flat_scratch_init 1
		.amdhsa_user_sgpr_kernarg_preload_length 0
		.amdhsa_user_sgpr_kernarg_preload_offset 0
		.amdhsa_user_sgpr_private_segment_size 0
		.amdhsa_uses_dynamic_stack 0
		.amdhsa_system_sgpr_private_segment_wavefront_offset 1
		.amdhsa_system_sgpr_workgroup_id_x 1
		.amdhsa_system_sgpr_workgroup_id_y 0
		.amdhsa_system_sgpr_workgroup_id_z 0
		.amdhsa_system_sgpr_workgroup_info 0
		.amdhsa_system_vgpr_workitem_id 2
		.amdhsa_next_free_vgpr 53
		.amdhsa_next_free_sgpr 32
		.amdhsa_accum_offset 56
		.amdhsa_reserve_vcc 1
		.amdhsa_reserve_flat_scratch 1
		.amdhsa_float_round_mode_32 0
		.amdhsa_float_round_mode_16_64 0
		.amdhsa_float_denorm_mode_32 3
		.amdhsa_float_denorm_mode_16_64 3
		.amdhsa_dx10_clamp 1
		.amdhsa_ieee_mode 1
		.amdhsa_fp16_overflow 0
		.amdhsa_tg_split 0
		.amdhsa_exception_fp_ieee_invalid_op 0
		.amdhsa_exception_fp_denorm_src 0
		.amdhsa_exception_fp_ieee_div_zero 0
		.amdhsa_exception_fp_ieee_overflow 0
		.amdhsa_exception_fp_ieee_underflow 0
		.amdhsa_exception_fp_ieee_inexact 0
		.amdhsa_exception_int_div_zero 0
	.end_amdhsa_kernel
	.section	.text._ZN9rocsparseL29csrgeam_fill_multipass_kernelILj256ELj64Eli21rocsparse_complex_numIdEEEvllNS_24const_host_device_scalarIT3_EEPKT1_PKT2_PKS4_S5_S8_SB_SD_S8_PS9_PS4_21rocsparse_index_base_SG_SG_bbb,"axG",@progbits,_ZN9rocsparseL29csrgeam_fill_multipass_kernelILj256ELj64Eli21rocsparse_complex_numIdEEEvllNS_24const_host_device_scalarIT3_EEPKT1_PKT2_PKS4_S5_S8_SB_SD_S8_PS9_PS4_21rocsparse_index_base_SG_SG_bbb,comdat
.Lfunc_end21:
	.size	_ZN9rocsparseL29csrgeam_fill_multipass_kernelILj256ELj64Eli21rocsparse_complex_numIdEEEvllNS_24const_host_device_scalarIT3_EEPKT1_PKT2_PKS4_S5_S8_SB_SD_S8_PS9_PS4_21rocsparse_index_base_SG_SG_bbb, .Lfunc_end21-_ZN9rocsparseL29csrgeam_fill_multipass_kernelILj256ELj64Eli21rocsparse_complex_numIdEEEvllNS_24const_host_device_scalarIT3_EEPKT1_PKT2_PKS4_S5_S8_SB_SD_S8_PS9_PS4_21rocsparse_index_base_SG_SG_bbb
                                        ; -- End function
	.section	.AMDGPU.csdata,"",@progbits
; Kernel info:
; codeLenInByte = 1912
; NumSgprs: 38
; NumVgprs: 53
; NumAgprs: 0
; TotalNumVgprs: 53
; ScratchSize: 16
; MemoryBound: 0
; FloatMode: 240
; IeeeMode: 1
; LDSByteSize: 6400 bytes/workgroup (compile time only)
; SGPRBlocks: 4
; VGPRBlocks: 6
; NumSGPRsForWavesPerEU: 38
; NumVGPRsForWavesPerEU: 53
; AccumOffset: 56
; Occupancy: 8
; WaveLimiterHint : 1
; COMPUTE_PGM_RSRC2:SCRATCH_EN: 1
; COMPUTE_PGM_RSRC2:USER_SGPR: 10
; COMPUTE_PGM_RSRC2:TRAP_HANDLER: 0
; COMPUTE_PGM_RSRC2:TGID_X_EN: 1
; COMPUTE_PGM_RSRC2:TGID_Y_EN: 0
; COMPUTE_PGM_RSRC2:TGID_Z_EN: 0
; COMPUTE_PGM_RSRC2:TIDIG_COMP_CNT: 2
; COMPUTE_PGM_RSRC3_GFX90A:ACCUM_OFFSET: 13
; COMPUTE_PGM_RSRC3_GFX90A:TG_SPLIT: 0
	.section	.text._ZN9rocsparseL29csrgeam_fill_multipass_kernelILj256ELj32Ell21rocsparse_complex_numIdEEEvllNS_24const_host_device_scalarIT3_EEPKT1_PKT2_PKS4_S5_S8_SB_SD_S8_PS9_PS4_21rocsparse_index_base_SG_SG_bbb,"axG",@progbits,_ZN9rocsparseL29csrgeam_fill_multipass_kernelILj256ELj32Ell21rocsparse_complex_numIdEEEvllNS_24const_host_device_scalarIT3_EEPKT1_PKT2_PKS4_S5_S8_SB_SD_S8_PS9_PS4_21rocsparse_index_base_SG_SG_bbb,comdat
	.globl	_ZN9rocsparseL29csrgeam_fill_multipass_kernelILj256ELj32Ell21rocsparse_complex_numIdEEEvllNS_24const_host_device_scalarIT3_EEPKT1_PKT2_PKS4_S5_S8_SB_SD_S8_PS9_PS4_21rocsparse_index_base_SG_SG_bbb ; -- Begin function _ZN9rocsparseL29csrgeam_fill_multipass_kernelILj256ELj32Ell21rocsparse_complex_numIdEEEvllNS_24const_host_device_scalarIT3_EEPKT1_PKT2_PKS4_S5_S8_SB_SD_S8_PS9_PS4_21rocsparse_index_base_SG_SG_bbb
	.p2align	8
	.type	_ZN9rocsparseL29csrgeam_fill_multipass_kernelILj256ELj32Ell21rocsparse_complex_numIdEEEvllNS_24const_host_device_scalarIT3_EEPKT1_PKT2_PKS4_S5_S8_SB_SD_S8_PS9_PS4_21rocsparse_index_base_SG_SG_bbb,@function
_ZN9rocsparseL29csrgeam_fill_multipass_kernelILj256ELj32Ell21rocsparse_complex_numIdEEEvllNS_24const_host_device_scalarIT3_EEPKT1_PKT2_PKS4_S5_S8_SB_SD_S8_PS9_PS4_21rocsparse_index_base_SG_SG_bbb: ; @_ZN9rocsparseL29csrgeam_fill_multipass_kernelILj256ELj32Ell21rocsparse_complex_numIdEEEvllNS_24const_host_device_scalarIT3_EEPKT1_PKT2_PKS4_S5_S8_SB_SD_S8_PS9_PS4_21rocsparse_index_base_SG_SG_bbb
; %bb.0:
	s_add_u32 flat_scratch_lo, s8, s11
	s_addc_u32 flat_scratch_hi, s9, 0
	s_add_u32 s0, s0, s11
	s_load_dword s11, s[6:7], 0x84
	s_load_dwordx8 s[12:19], s[6:7], 0x0
	s_load_dwordx2 s[8:9], s[4:5], 0x4
	s_load_dwordx4 s[20:23], s[6:7], 0x38
	s_load_dwordx4 s[24:27], s[6:7], 0x78
	s_addc_u32 s1, s1, 0
	s_waitcnt lgkmcnt(0)
	s_bitcmp1_b32 s11, 16
	s_cselect_b64 s[4:5], -1, 0
	s_lshr_b32 s8, s8, 16
	v_and_b32_e32 v24, 0x3ff, v0
	s_mul_i32 s8, s8, s9
	v_mul_lo_u32 v1, s8, v24
	v_bfe_u32 v2, v0, 10, 10
	v_mad_u32_u24 v1, v2, s9, v1
	v_bfe_u32 v0, v0, 20, 10
	v_add_lshl_u32 v0, v1, v0, 3
	v_mov_b32_e32 v1, s21
	buffer_store_dword v1, off, s[0:3], 0 offset:4
	v_mov_b32_e32 v1, s20
	s_xor_b64 s[8:9], s[4:5], -1
	buffer_store_dword v1, off, s[0:3], 0
	v_pk_mov_b32 v[10:11], 0, 0
	v_cndmask_b32_e64 v1, 0, 1, s[8:9]
	v_pk_mov_b32 v[2:3], s[16:17], s[16:17] op_sel:[0,1]
	s_bitcmp0_b32 s27, 0
	v_cmp_ne_u32_e64 s[8:9], 1, v1
	v_pk_mov_b32 v[8:9], v[10:11], v[10:11] op_sel:[0,1]
	v_pk_mov_b32 v[12:13], v[10:11], v[10:11] op_sel:[0,1]
	ds_write_b64 v0, v[2:3] offset:4352
	s_cbranch_scc1 .LBB22_3
; %bb.1:
	s_mov_b64 s[28:29], src_shared_base
	s_and_b64 s[30:31], s[4:5], exec
	v_add_u32_e32 v0, 0x1100, v0
	s_cselect_b32 s27, s29, s17
	v_mov_b32_e32 v1, s16
	v_cndmask_b32_e64 v0, v1, v0, s[4:5]
	v_mov_b32_e32 v1, s27
	flat_load_dwordx2 v[8:9], v[0:1]
	s_and_b64 vcc, exec, s[8:9]
	v_pk_mov_b32 v[12:13], s[18:19], s[18:19] op_sel:[0,1]
	s_cbranch_vccnz .LBB22_3
; %bb.2:
	v_pk_mov_b32 v[0:1], s[16:17], s[16:17] op_sel:[0,1]
	flat_load_dwordx2 v[12:13], v[0:1] offset:8
.LBB22_3:
	s_bfe_u32 s11, s11, 0x10008
	s_cmp_eq_u32 s11, 0
	v_pk_mov_b32 v[14:15], v[10:11], v[10:11] op_sel:[0,1]
	s_cbranch_scc1 .LBB22_6
; %bb.4:
	s_mov_b64 s[16:17], src_private_base
	s_and_b64 s[18:19], s[4:5], exec
	s_cselect_b32 s11, s17, s21
	v_mov_b32_e32 v0, 0
	v_mov_b32_e32 v1, s20
	v_cndmask_b32_e64 v0, v1, v0, s[4:5]
	v_mov_b32_e32 v1, s11
	flat_load_dwordx2 v[14:15], v[0:1]
	s_and_b64 vcc, exec, s[8:9]
	v_pk_mov_b32 v[10:11], s[22:23], s[22:23] op_sel:[0,1]
	s_cbranch_vccnz .LBB22_6
; %bb.5:
	v_pk_mov_b32 v[0:1], s[20:21], s[20:21] op_sel:[0,1]
	flat_load_dwordx2 v[10:11], v[0:1] offset:8
.LBB22_6:
	s_lshl_b32 s4, s10, 3
	v_lshrrev_b32_e32 v0, 5, v24
	s_and_b32 s4, s4, 0x7fffff8
	v_or_b32_e32 v0, s4, v0
	v_mov_b32_e32 v1, 0
	v_cmp_gt_i64_e32 vcc, s[12:13], v[0:1]
	s_and_saveexec_b64 s[4:5], vcc
	s_cbranch_execz .LBB22_35
; %bb.7:
	s_load_dwordx4 s[8:11], s[6:7], 0x20
	s_load_dwordx8 s[16:23], s[6:7], 0x48
	s_load_dwordx2 s[12:13], s[6:7], 0x30
	v_lshlrev_b32_e32 v18, 3, v0
	s_load_dwordx4 s[4:7], s[6:7], 0x68
	s_waitcnt lgkmcnt(0)
	global_load_dwordx4 v[0:3], v18, s[8:9]
	global_load_dwordx4 v[4:7], v18, s[16:17]
	global_load_dwordx2 v[16:17], v18, s[22:23]
	s_mov_b32 s22, 0
	s_mov_b32 s23, s24
	;; [unrolled: 1-line block ×3, first 2 shown]
	s_waitcnt vmcnt(0)
	v_subrev_co_u32_e32 v18, vcc, s24, v0
	v_subbrev_co_u32_e32 v19, vcc, 0, v1, vcc
	v_cmp_lt_i64_e32 vcc, v[0:1], v[2:3]
	v_pk_mov_b32 v[0:1], s[14:15], s[14:15] op_sel:[0,1]
	s_and_saveexec_b64 s[8:9], vcc
	s_cbranch_execz .LBB22_9
; %bb.8:
	v_lshlrev_b64 v[0:1], 3, v[18:19]
	v_mov_b32_e32 v20, s11
	v_add_co_u32_e32 v0, vcc, s10, v0
	v_addc_co_u32_e32 v1, vcc, v20, v1, vcc
	global_load_dwordx2 v[0:1], v[0:1], off
	v_mov_b32_e32 v20, s27
	s_waitcnt vmcnt(0)
	v_subrev_co_u32_e32 v0, vcc, s23, v0
	v_subb_co_u32_e32 v1, vcc, v1, v20, vcc
.LBB22_9:
	s_or_b64 exec, exec, s[8:9]
	v_subrev_co_u32_e32 v20, vcc, s25, v4
	v_subbrev_co_u32_e32 v21, vcc, 0, v5, vcc
	s_mov_b32 s24, s25
	v_cmp_lt_i64_e32 vcc, v[4:5], v[6:7]
	v_pk_mov_b32 v[22:23], s[14:15], s[14:15] op_sel:[0,1]
	s_and_saveexec_b64 s[8:9], vcc
	s_cbranch_execz .LBB22_11
; %bb.10:
	v_lshlrev_b64 v[4:5], 3, v[20:21]
	v_mov_b32_e32 v22, s19
	v_add_co_u32_e32 v4, vcc, s18, v4
	v_addc_co_u32_e32 v5, vcc, v22, v5, vcc
	global_load_dwordx2 v[4:5], v[4:5], off
	v_mov_b32_e32 v23, s22
	s_waitcnt vmcnt(0)
	v_subrev_co_u32_e32 v22, vcc, s24, v4
	v_subb_co_u32_e32 v23, vcc, v5, v23, vcc
.LBB22_11:
	s_or_b64 exec, exec, s[8:9]
	v_and_b32_e32 v4, 0xe0, v24
	v_or_b32_e32 v34, 0x1000, v4
	v_lshlrev_b32_e32 v35, 4, v4
	v_mov_b32_e32 v5, s27
	v_subrev_co_u32_e32 v4, vcc, s23, v2
	v_subb_co_u32_e32 v5, vcc, v3, v5, vcc
	v_mov_b32_e32 v2, s22
	v_subrev_co_u32_e32 v6, vcc, s24, v6
	v_subb_co_u32_e32 v7, vcc, v7, v2, vcc
	v_subrev_co_u32_e32 v16, vcc, s26, v16
	v_subbrev_co_u32_e32 v17, vcc, 0, v17, vcc
	v_and_b32_e32 v2, 31, v24
	v_cmp_lt_i64_e32 vcc, v[22:23], v[0:1]
	v_cndmask_b32_e32 v23, v1, v23, vcc
	v_cndmask_b32_e32 v22, v0, v22, vcc
	v_add_co_u32_e32 v18, vcc, v18, v2
	v_addc_co_u32_e32 v19, vcc, 0, v19, vcc
	v_mbcnt_lo_u32_b32 v1, -1, 0
	v_add_co_u32_e32 v20, vcc, v20, v2
	v_mbcnt_hi_u32_b32 v1, -1, v1
	v_addc_co_u32_e32 v21, vcc, 0, v21, vcc
	v_and_b32_e32 v3, 64, v1
	v_xor_b32_e32 v24, 31, v2
	v_add_u32_e32 v3, 64, v3
	v_lshrrev_b32_e64 v37, v24, -1
	v_add_co_u32_e32 v38, vcc, s26, v2
	v_xor_b32_e32 v24, 16, v1
	v_addc_co_u32_e64 v39, s[8:9], 0, 0, vcc
	v_cmp_lt_i32_e32 vcc, v24, v3
	v_cndmask_b32_e32 v24, v1, v24, vcc
	v_lshlrev_b32_e32 v40, 2, v24
	v_xor_b32_e32 v24, 8, v1
	v_cmp_lt_i32_e32 vcc, v24, v3
	v_cndmask_b32_e32 v24, v1, v24, vcc
	v_lshlrev_b32_e32 v41, 2, v24
	v_xor_b32_e32 v24, 4, v1
	v_cmp_lt_i32_e32 vcc, v24, v3
	v_cndmask_b32_e32 v24, v1, v24, vcc
	s_add_u32 s25, s4, -8
	v_lshlrev_b32_e32 v42, 2, v24
	v_xor_b32_e32 v24, 2, v1
	s_addc_u32 s26, s5, -1
	v_cmp_lt_i32_e32 vcc, v24, v3
	s_add_u32 s28, s6, -16
	v_cndmask_b32_e32 v24, v1, v24, vcc
	s_addc_u32 s29, s7, -1
	v_lshlrev_b32_e32 v43, 2, v24
	v_xor_b32_e32 v24, 1, v1
	s_add_u32 s30, s12, 8
	v_cmp_lt_i32_e32 vcc, v24, v3
	s_addc_u32 s31, s13, 0
	v_mov_b32_e32 v0, 0
	v_cndmask_b32_e32 v1, v1, v24, vcc
	s_add_u32 s20, s20, 8
	v_lshl_or_b32 v36, v2, 4, v35
	v_lshlrev_b32_e32 v44, 2, v1
	s_addc_u32 s21, s21, 0
	s_mov_b64 s[6:7], 0
	v_add_u32_e32 v45, v34, v2
	v_mov_b32_e32 v1, v0
	v_mov_b32_e32 v2, v0
	;; [unrolled: 1-line block ×4, first 2 shown]
	s_branch .LBB22_13
.LBB22_12:                              ;   in Loop: Header=BB22_13 Depth=1
	s_or_b64 exec, exec, s[8:9]
	ds_bpermute_b32 v22, v40, v24
	ds_bpermute_b32 v23, v40, v25
	s_waitcnt lgkmcnt(0)
	v_cmp_lt_i64_e64 s[4:5], v[22:23], v[24:25]
	v_cndmask_b32_e64 v23, v25, v23, s[4:5]
	v_cndmask_b32_e64 v22, v24, v22, s[4:5]
	ds_bpermute_b32 v25, v41, v23
	ds_bpermute_b32 v24, v41, v22
	s_waitcnt lgkmcnt(0)
	v_cmp_lt_i64_e64 s[4:5], v[24:25], v[22:23]
	v_cndmask_b32_e64 v23, v23, v25, s[4:5]
	v_cndmask_b32_e64 v22, v22, v24, s[4:5]
	;; [unrolled: 6-line block ×4, first 2 shown]
	ds_bpermute_b32 v25, v44, v23
	ds_bpermute_b32 v24, v44, v22
	s_bcnt1_i32_b64 s4, vcc
	s_waitcnt lgkmcnt(0)
	v_cmp_lt_i64_e32 vcc, v[24:25], v[22:23]
	v_cndmask_b32_e32 v23, v23, v25, vcc
	v_cndmask_b32_e32 v22, v22, v24, vcc
	v_cmp_le_i64_e32 vcc, s[14:15], v[22:23]
	s_or_b64 s[6:7], vcc, s[6:7]
	v_add_co_u32_e32 v16, vcc, s4, v16
	v_addc_co_u32_e32 v17, vcc, 0, v17, vcc
	s_andn2_b64 exec, exec, s[6:7]
	s_cbranch_execz .LBB22_35
.LBB22_13:                              ; =>This Loop Header: Depth=1
                                        ;     Child Loop BB22_16 Depth 2
                                        ;     Child Loop BB22_26 Depth 2
	v_cmp_lt_i64_e32 vcc, v[18:19], v[4:5]
	v_pk_mov_b32 v[24:25], s[14:15], s[14:15] op_sel:[0,1]
	ds_write_b8 v45, v0
	ds_write_b128 v36, v[0:3]
	s_waitcnt lgkmcnt(0)
	s_and_saveexec_b64 s[8:9], vcc
	s_cbranch_execz .LBB22_23
; %bb.14:                               ;   in Loop: Header=BB22_13 Depth=1
	v_lshlrev_b64 v[24:25], 3, v[18:19]
	v_mov_b32_e32 v27, s11
	v_add_co_u32_e32 v26, vcc, s10, v24
	v_addc_co_u32_e32 v27, vcc, v27, v25, vcc
	v_lshlrev_b64 v[24:25], 4, v[18:19]
	v_mov_b32_e32 v29, s31
	v_add_co_u32_e32 v28, vcc, s30, v24
	v_addc_co_u32_e32 v29, vcc, v29, v25, vcc
	s_mov_b64 s[12:13], 0
	v_pk_mov_b32 v[24:25], s[14:15], s[14:15] op_sel:[0,1]
	s_branch .LBB22_16
.LBB22_15:                              ;   in Loop: Header=BB22_16 Depth=2
	s_or_b64 exec, exec, s[4:5]
	s_and_b64 s[4:5], exec, s[16:17]
	s_or_b64 s[12:13], s[4:5], s[12:13]
	s_andn2_b64 exec, exec, s[12:13]
	s_cbranch_execz .LBB22_22
.LBB22_16:                              ;   Parent Loop BB22_13 Depth=1
                                        ; =>  This Inner Loop Header: Depth=2
	global_load_dwordx2 v[30:31], v[26:27], off
	v_mov_b32_e32 v33, s27
	s_waitcnt vmcnt(0)
	v_subrev_co_u32_e32 v32, vcc, s23, v30
	v_subb_co_u32_e32 v33, vcc, v31, v33, vcc
	v_sub_co_u32_e32 v30, vcc, v32, v22
	v_subb_co_u32_e32 v31, vcc, v33, v23, vcc
	v_cmp_gt_i64_e32 vcc, 32, v[30:31]
	v_cmp_lt_i64_e64 s[4:5], 31, v[30:31]
	s_and_saveexec_b64 s[16:17], s[4:5]
	s_xor_b64 s[16:17], exec, s[16:17]
	s_cbranch_execnz .LBB22_19
; %bb.17:                               ;   in Loop: Header=BB22_16 Depth=2
	s_andn2_saveexec_b64 s[4:5], s[16:17]
	s_cbranch_execnz .LBB22_20
.LBB22_18:                              ;   in Loop: Header=BB22_16 Depth=2
	s_or_b64 exec, exec, s[4:5]
	s_mov_b64 s[16:17], -1
	s_and_saveexec_b64 s[4:5], vcc
	s_cbranch_execz .LBB22_15
	s_branch .LBB22_21
.LBB22_19:                              ;   in Loop: Header=BB22_16 Depth=2
	v_cmp_lt_i64_e64 s[4:5], v[32:33], v[24:25]
	v_cndmask_b32_e64 v25, v25, v33, s[4:5]
	v_cndmask_b32_e64 v24, v24, v32, s[4:5]
                                        ; implicit-def: $vgpr30
	s_andn2_saveexec_b64 s[4:5], s[16:17]
	s_cbranch_execz .LBB22_18
.LBB22_20:                              ;   in Loop: Header=BB22_16 Depth=2
	global_load_dwordx4 v[48:51], v[28:29], off offset:-8
	v_add_u32_e32 v31, v34, v30
	v_lshl_add_u32 v30, v30, 4, v35
	ds_write_b8 v31, v46
	s_waitcnt vmcnt(0)
	v_mul_f64 v[52:53], v[50:51], -v[12:13]
	v_mul_f64 v[54:55], v[8:9], v[50:51]
	v_fmac_f64_e32 v[52:53], v[8:9], v[48:49]
	v_fmac_f64_e32 v[54:55], v[12:13], v[48:49]
	ds_write_b128 v30, v[52:55]
	s_or_b64 exec, exec, s[4:5]
	s_mov_b64 s[16:17], -1
	s_and_saveexec_b64 s[4:5], vcc
	s_cbranch_execz .LBB22_15
.LBB22_21:                              ;   in Loop: Header=BB22_16 Depth=2
	v_add_co_u32_e32 v18, vcc, 32, v18
	v_addc_co_u32_e32 v19, vcc, 0, v19, vcc
	v_add_co_u32_e32 v26, vcc, 0x100, v26
	v_addc_co_u32_e32 v27, vcc, 0, v27, vcc
	;; [unrolled: 2-line block ×3, first 2 shown]
	v_cmp_ge_i64_e32 vcc, v[18:19], v[4:5]
	s_orn2_b64 s[16:17], vcc, exec
	s_branch .LBB22_15
.LBB22_22:                              ;   in Loop: Header=BB22_13 Depth=1
	s_or_b64 exec, exec, s[12:13]
.LBB22_23:                              ;   in Loop: Header=BB22_13 Depth=1
	s_or_b64 exec, exec, s[8:9]
	v_cmp_lt_i64_e32 vcc, v[20:21], v[6:7]
	s_waitcnt lgkmcnt(0)
	s_and_saveexec_b64 s[8:9], vcc
	s_cbranch_execz .LBB22_33
; %bb.24:                               ;   in Loop: Header=BB22_13 Depth=1
	v_lshlrev_b64 v[26:27], 3, v[20:21]
	v_mov_b32_e32 v28, s19
	v_add_co_u32_e32 v26, vcc, s18, v26
	v_addc_co_u32_e32 v27, vcc, v28, v27, vcc
	v_lshlrev_b64 v[28:29], 4, v[20:21]
	v_mov_b32_e32 v30, s21
	v_add_co_u32_e32 v28, vcc, s20, v28
	v_addc_co_u32_e32 v29, vcc, v30, v29, vcc
	s_mov_b64 s[12:13], 0
	s_branch .LBB22_26
.LBB22_25:                              ;   in Loop: Header=BB22_26 Depth=2
	s_or_b64 exec, exec, s[4:5]
	s_and_b64 s[4:5], exec, s[16:17]
	s_or_b64 s[12:13], s[4:5], s[12:13]
	s_andn2_b64 exec, exec, s[12:13]
	s_cbranch_execz .LBB22_32
.LBB22_26:                              ;   Parent Loop BB22_13 Depth=1
                                        ; =>  This Inner Loop Header: Depth=2
	global_load_dwordx2 v[30:31], v[26:27], off
	v_mov_b32_e32 v33, s22
	s_waitcnt vmcnt(0)
	v_subrev_co_u32_e32 v32, vcc, s24, v30
	v_subb_co_u32_e32 v33, vcc, v31, v33, vcc
	v_sub_co_u32_e32 v30, vcc, v32, v22
	v_subb_co_u32_e32 v31, vcc, v33, v23, vcc
	v_cmp_gt_i64_e32 vcc, 32, v[30:31]
	v_cmp_lt_i64_e64 s[4:5], 31, v[30:31]
	s_and_saveexec_b64 s[16:17], s[4:5]
	s_xor_b64 s[16:17], exec, s[16:17]
	s_cbranch_execnz .LBB22_29
; %bb.27:                               ;   in Loop: Header=BB22_26 Depth=2
	s_andn2_saveexec_b64 s[4:5], s[16:17]
	s_cbranch_execnz .LBB22_30
.LBB22_28:                              ;   in Loop: Header=BB22_26 Depth=2
	s_or_b64 exec, exec, s[4:5]
	s_mov_b64 s[16:17], -1
	s_and_saveexec_b64 s[4:5], vcc
	s_cbranch_execz .LBB22_25
	s_branch .LBB22_31
.LBB22_29:                              ;   in Loop: Header=BB22_26 Depth=2
	v_cmp_lt_i64_e64 s[4:5], v[32:33], v[24:25]
	v_cndmask_b32_e64 v25, v25, v33, s[4:5]
	v_cndmask_b32_e64 v24, v24, v32, s[4:5]
                                        ; implicit-def: $vgpr30
	s_andn2_saveexec_b64 s[4:5], s[16:17]
	s_cbranch_execz .LBB22_28
.LBB22_30:                              ;   in Loop: Header=BB22_26 Depth=2
	global_load_dwordx4 v[48:51], v[28:29], off offset:-8
	v_lshl_add_u32 v31, v30, 4, v35
	ds_read_b128 v[52:55], v31
	v_add_u32_e32 v30, v34, v30
	ds_write_b8 v30, v46
	s_waitcnt vmcnt(0) lgkmcnt(1)
	v_fmac_f64_e32 v[52:53], v[14:15], v[48:49]
	v_fmac_f64_e32 v[54:55], v[10:11], v[48:49]
	v_fma_f64 v[52:53], -v[10:11], v[50:51], v[52:53]
	v_fmac_f64_e32 v[54:55], v[14:15], v[50:51]
	ds_write_b128 v31, v[52:55]
	s_or_b64 exec, exec, s[4:5]
	s_mov_b64 s[16:17], -1
	s_and_saveexec_b64 s[4:5], vcc
	s_cbranch_execz .LBB22_25
.LBB22_31:                              ;   in Loop: Header=BB22_26 Depth=2
	v_add_co_u32_e32 v20, vcc, 32, v20
	v_addc_co_u32_e32 v21, vcc, 0, v21, vcc
	v_add_co_u32_e32 v26, vcc, 0x100, v26
	v_addc_co_u32_e32 v27, vcc, 0, v27, vcc
	;; [unrolled: 2-line block ×3, first 2 shown]
	v_cmp_ge_i64_e32 vcc, v[20:21], v[6:7]
	s_orn2_b64 s[16:17], vcc, exec
	s_branch .LBB22_25
.LBB22_32:                              ;   in Loop: Header=BB22_13 Depth=1
	s_or_b64 exec, exec, s[12:13]
.LBB22_33:                              ;   in Loop: Header=BB22_13 Depth=1
	s_or_b64 exec, exec, s[8:9]
	s_waitcnt lgkmcnt(0)
	ds_read_u8 v26, v45
	s_waitcnt lgkmcnt(0)
	v_and_b32_e32 v27, 1, v26
	v_cmp_eq_u32_e64 s[4:5], 1, v27
	v_cmp_ne_u16_e32 vcc, 0, v26
	s_and_saveexec_b64 s[8:9], s[4:5]
	s_cbranch_execz .LBB22_12
; %bb.34:                               ;   in Loop: Header=BB22_13 Depth=1
	v_and_b32_e32 v26, vcc_lo, v37
	v_add_co_u32_e64 v22, s[4:5], v38, v22
	v_bcnt_u32_b32 v26, v26, 0
	v_addc_co_u32_e64 v23, s[4:5], v39, v23, s[4:5]
	v_add_co_u32_e64 v26, s[4:5], v16, v26
	v_addc_co_u32_e64 v27, s[4:5], 0, v17, s[4:5]
	v_lshlrev_b64 v[28:29], 3, v[26:27]
	v_mov_b32_e32 v30, s26
	v_add_co_u32_e64 v28, s[4:5], s25, v28
	v_addc_co_u32_e64 v29, s[4:5], v30, v29, s[4:5]
	global_store_dwordx2 v[28:29], v[22:23], off
	v_lshlrev_b64 v[22:23], 4, v[26:27]
	ds_read2_b64 v[26:29], v36 offset1:1
	v_mov_b32_e32 v30, s29
	v_add_co_u32_e64 v22, s[4:5], s28, v22
	v_addc_co_u32_e64 v23, s[4:5], v30, v23, s[4:5]
	s_waitcnt lgkmcnt(0)
	global_store_dwordx4 v[22:23], v[26:29], off
	s_branch .LBB22_12
.LBB22_35:
	s_endpgm
	.section	.rodata,"a",@progbits
	.p2align	6, 0x0
	.amdhsa_kernel _ZN9rocsparseL29csrgeam_fill_multipass_kernelILj256ELj32Ell21rocsparse_complex_numIdEEEvllNS_24const_host_device_scalarIT3_EEPKT1_PKT2_PKS4_S5_S8_SB_SD_S8_PS9_PS4_21rocsparse_index_base_SG_SG_bbb
		.amdhsa_group_segment_fixed_size 6400
		.amdhsa_private_segment_fixed_size 16
		.amdhsa_kernarg_size 136
		.amdhsa_user_sgpr_count 10
		.amdhsa_user_sgpr_private_segment_buffer 1
		.amdhsa_user_sgpr_dispatch_ptr 1
		.amdhsa_user_sgpr_queue_ptr 0
		.amdhsa_user_sgpr_kernarg_segment_ptr 1
		.amdhsa_user_sgpr_dispatch_id 0
		.amdhsa_user_sgpr_flat_scratch_init 1
		.amdhsa_user_sgpr_kernarg_preload_length 0
		.amdhsa_user_sgpr_kernarg_preload_offset 0
		.amdhsa_user_sgpr_private_segment_size 0
		.amdhsa_uses_dynamic_stack 0
		.amdhsa_system_sgpr_private_segment_wavefront_offset 1
		.amdhsa_system_sgpr_workgroup_id_x 1
		.amdhsa_system_sgpr_workgroup_id_y 0
		.amdhsa_system_sgpr_workgroup_id_z 0
		.amdhsa_system_sgpr_workgroup_info 0
		.amdhsa_system_vgpr_workitem_id 2
		.amdhsa_next_free_vgpr 56
		.amdhsa_next_free_sgpr 32
		.amdhsa_accum_offset 56
		.amdhsa_reserve_vcc 1
		.amdhsa_reserve_flat_scratch 1
		.amdhsa_float_round_mode_32 0
		.amdhsa_float_round_mode_16_64 0
		.amdhsa_float_denorm_mode_32 3
		.amdhsa_float_denorm_mode_16_64 3
		.amdhsa_dx10_clamp 1
		.amdhsa_ieee_mode 1
		.amdhsa_fp16_overflow 0
		.amdhsa_tg_split 0
		.amdhsa_exception_fp_ieee_invalid_op 0
		.amdhsa_exception_fp_denorm_src 0
		.amdhsa_exception_fp_ieee_div_zero 0
		.amdhsa_exception_fp_ieee_overflow 0
		.amdhsa_exception_fp_ieee_underflow 0
		.amdhsa_exception_fp_ieee_inexact 0
		.amdhsa_exception_int_div_zero 0
	.end_amdhsa_kernel
	.section	.text._ZN9rocsparseL29csrgeam_fill_multipass_kernelILj256ELj32Ell21rocsparse_complex_numIdEEEvllNS_24const_host_device_scalarIT3_EEPKT1_PKT2_PKS4_S5_S8_SB_SD_S8_PS9_PS4_21rocsparse_index_base_SG_SG_bbb,"axG",@progbits,_ZN9rocsparseL29csrgeam_fill_multipass_kernelILj256ELj32Ell21rocsparse_complex_numIdEEEvllNS_24const_host_device_scalarIT3_EEPKT1_PKT2_PKS4_S5_S8_SB_SD_S8_PS9_PS4_21rocsparse_index_base_SG_SG_bbb,comdat
.Lfunc_end22:
	.size	_ZN9rocsparseL29csrgeam_fill_multipass_kernelILj256ELj32Ell21rocsparse_complex_numIdEEEvllNS_24const_host_device_scalarIT3_EEPKT1_PKT2_PKS4_S5_S8_SB_SD_S8_PS9_PS4_21rocsparse_index_base_SG_SG_bbb, .Lfunc_end22-_ZN9rocsparseL29csrgeam_fill_multipass_kernelILj256ELj32Ell21rocsparse_complex_numIdEEEvllNS_24const_host_device_scalarIT3_EEPKT1_PKT2_PKS4_S5_S8_SB_SD_S8_PS9_PS4_21rocsparse_index_base_SG_SG_bbb
                                        ; -- End function
	.section	.AMDGPU.csdata,"",@progbits
; Kernel info:
; codeLenInByte = 2060
; NumSgprs: 38
; NumVgprs: 56
; NumAgprs: 0
; TotalNumVgprs: 56
; ScratchSize: 16
; MemoryBound: 0
; FloatMode: 240
; IeeeMode: 1
; LDSByteSize: 6400 bytes/workgroup (compile time only)
; SGPRBlocks: 4
; VGPRBlocks: 6
; NumSGPRsForWavesPerEU: 38
; NumVGPRsForWavesPerEU: 56
; AccumOffset: 56
; Occupancy: 8
; WaveLimiterHint : 1
; COMPUTE_PGM_RSRC2:SCRATCH_EN: 1
; COMPUTE_PGM_RSRC2:USER_SGPR: 10
; COMPUTE_PGM_RSRC2:TRAP_HANDLER: 0
; COMPUTE_PGM_RSRC2:TGID_X_EN: 1
; COMPUTE_PGM_RSRC2:TGID_Y_EN: 0
; COMPUTE_PGM_RSRC2:TGID_Z_EN: 0
; COMPUTE_PGM_RSRC2:TIDIG_COMP_CNT: 2
; COMPUTE_PGM_RSRC3_GFX90A:ACCUM_OFFSET: 13
; COMPUTE_PGM_RSRC3_GFX90A:TG_SPLIT: 0
	.section	.text._ZN9rocsparseL29csrgeam_fill_multipass_kernelILj256ELj64Ell21rocsparse_complex_numIdEEEvllNS_24const_host_device_scalarIT3_EEPKT1_PKT2_PKS4_S5_S8_SB_SD_S8_PS9_PS4_21rocsparse_index_base_SG_SG_bbb,"axG",@progbits,_ZN9rocsparseL29csrgeam_fill_multipass_kernelILj256ELj64Ell21rocsparse_complex_numIdEEEvllNS_24const_host_device_scalarIT3_EEPKT1_PKT2_PKS4_S5_S8_SB_SD_S8_PS9_PS4_21rocsparse_index_base_SG_SG_bbb,comdat
	.globl	_ZN9rocsparseL29csrgeam_fill_multipass_kernelILj256ELj64Ell21rocsparse_complex_numIdEEEvllNS_24const_host_device_scalarIT3_EEPKT1_PKT2_PKS4_S5_S8_SB_SD_S8_PS9_PS4_21rocsparse_index_base_SG_SG_bbb ; -- Begin function _ZN9rocsparseL29csrgeam_fill_multipass_kernelILj256ELj64Ell21rocsparse_complex_numIdEEEvllNS_24const_host_device_scalarIT3_EEPKT1_PKT2_PKS4_S5_S8_SB_SD_S8_PS9_PS4_21rocsparse_index_base_SG_SG_bbb
	.p2align	8
	.type	_ZN9rocsparseL29csrgeam_fill_multipass_kernelILj256ELj64Ell21rocsparse_complex_numIdEEEvllNS_24const_host_device_scalarIT3_EEPKT1_PKT2_PKS4_S5_S8_SB_SD_S8_PS9_PS4_21rocsparse_index_base_SG_SG_bbb,@function
_ZN9rocsparseL29csrgeam_fill_multipass_kernelILj256ELj64Ell21rocsparse_complex_numIdEEEvllNS_24const_host_device_scalarIT3_EEPKT1_PKT2_PKS4_S5_S8_SB_SD_S8_PS9_PS4_21rocsparse_index_base_SG_SG_bbb: ; @_ZN9rocsparseL29csrgeam_fill_multipass_kernelILj256ELj64Ell21rocsparse_complex_numIdEEEvllNS_24const_host_device_scalarIT3_EEPKT1_PKT2_PKS4_S5_S8_SB_SD_S8_PS9_PS4_21rocsparse_index_base_SG_SG_bbb
; %bb.0:
	s_add_u32 flat_scratch_lo, s8, s11
	s_addc_u32 flat_scratch_hi, s9, 0
	s_add_u32 s0, s0, s11
	s_load_dword s11, s[6:7], 0x84
	s_load_dwordx8 s[12:19], s[6:7], 0x0
	s_load_dwordx2 s[8:9], s[4:5], 0x4
	s_load_dwordx4 s[20:23], s[6:7], 0x38
	s_load_dwordx4 s[24:27], s[6:7], 0x78
	s_addc_u32 s1, s1, 0
	s_waitcnt lgkmcnt(0)
	s_bitcmp1_b32 s11, 16
	s_cselect_b64 s[4:5], -1, 0
	s_lshr_b32 s8, s8, 16
	v_and_b32_e32 v24, 0x3ff, v0
	s_mul_i32 s8, s8, s9
	v_mul_lo_u32 v1, s8, v24
	v_bfe_u32 v2, v0, 10, 10
	v_mad_u32_u24 v1, v2, s9, v1
	v_bfe_u32 v0, v0, 20, 10
	v_add_lshl_u32 v0, v1, v0, 3
	v_mov_b32_e32 v1, s21
	buffer_store_dword v1, off, s[0:3], 0 offset:4
	v_mov_b32_e32 v1, s20
	s_xor_b64 s[8:9], s[4:5], -1
	buffer_store_dword v1, off, s[0:3], 0
	v_pk_mov_b32 v[10:11], 0, 0
	v_cndmask_b32_e64 v1, 0, 1, s[8:9]
	v_pk_mov_b32 v[2:3], s[16:17], s[16:17] op_sel:[0,1]
	s_bitcmp0_b32 s27, 0
	v_cmp_ne_u32_e64 s[8:9], 1, v1
	v_pk_mov_b32 v[8:9], v[10:11], v[10:11] op_sel:[0,1]
	v_pk_mov_b32 v[12:13], v[10:11], v[10:11] op_sel:[0,1]
	ds_write_b64 v0, v[2:3] offset:4352
	s_cbranch_scc1 .LBB23_3
; %bb.1:
	s_mov_b64 s[28:29], src_shared_base
	s_and_b64 s[30:31], s[4:5], exec
	v_add_u32_e32 v0, 0x1100, v0
	s_cselect_b32 s27, s29, s17
	v_mov_b32_e32 v1, s16
	v_cndmask_b32_e64 v0, v1, v0, s[4:5]
	v_mov_b32_e32 v1, s27
	flat_load_dwordx2 v[8:9], v[0:1]
	s_and_b64 vcc, exec, s[8:9]
	v_pk_mov_b32 v[12:13], s[18:19], s[18:19] op_sel:[0,1]
	s_cbranch_vccnz .LBB23_3
; %bb.2:
	v_pk_mov_b32 v[0:1], s[16:17], s[16:17] op_sel:[0,1]
	flat_load_dwordx2 v[12:13], v[0:1] offset:8
.LBB23_3:
	s_bfe_u32 s11, s11, 0x10008
	s_cmp_eq_u32 s11, 0
	v_pk_mov_b32 v[14:15], v[10:11], v[10:11] op_sel:[0,1]
	s_cbranch_scc1 .LBB23_6
; %bb.4:
	s_mov_b64 s[16:17], src_private_base
	s_and_b64 s[18:19], s[4:5], exec
	s_cselect_b32 s11, s17, s21
	v_mov_b32_e32 v0, 0
	v_mov_b32_e32 v1, s20
	v_cndmask_b32_e64 v0, v1, v0, s[4:5]
	v_mov_b32_e32 v1, s11
	flat_load_dwordx2 v[14:15], v[0:1]
	s_and_b64 vcc, exec, s[8:9]
	v_pk_mov_b32 v[10:11], s[22:23], s[22:23] op_sel:[0,1]
	s_cbranch_vccnz .LBB23_6
; %bb.5:
	v_pk_mov_b32 v[0:1], s[20:21], s[20:21] op_sel:[0,1]
	flat_load_dwordx2 v[10:11], v[0:1] offset:8
.LBB23_6:
	s_lshl_b32 s4, s10, 2
	v_lshrrev_b32_e32 v0, 6, v24
	s_and_b32 s4, s4, 0x3fffffc
	v_or_b32_e32 v0, s4, v0
	v_mov_b32_e32 v1, 0
	v_cmp_gt_i64_e32 vcc, s[12:13], v[0:1]
	s_and_saveexec_b64 s[4:5], vcc
	s_cbranch_execz .LBB23_35
; %bb.7:
	s_load_dwordx4 s[8:11], s[6:7], 0x20
	s_load_dwordx8 s[16:23], s[6:7], 0x48
	s_load_dwordx2 s[12:13], s[6:7], 0x30
	v_lshlrev_b32_e32 v18, 3, v0
	s_load_dwordx4 s[4:7], s[6:7], 0x68
	s_waitcnt lgkmcnt(0)
	global_load_dwordx4 v[0:3], v18, s[8:9]
	global_load_dwordx4 v[4:7], v18, s[16:17]
	global_load_dwordx2 v[16:17], v18, s[22:23]
	s_mov_b32 s22, 0
	s_mov_b32 s23, s24
	;; [unrolled: 1-line block ×3, first 2 shown]
	s_waitcnt vmcnt(0)
	v_subrev_co_u32_e32 v18, vcc, s24, v0
	v_subbrev_co_u32_e32 v19, vcc, 0, v1, vcc
	v_cmp_lt_i64_e32 vcc, v[0:1], v[2:3]
	v_pk_mov_b32 v[0:1], s[14:15], s[14:15] op_sel:[0,1]
	s_and_saveexec_b64 s[8:9], vcc
	s_cbranch_execz .LBB23_9
; %bb.8:
	v_lshlrev_b64 v[0:1], 3, v[18:19]
	v_mov_b32_e32 v20, s11
	v_add_co_u32_e32 v0, vcc, s10, v0
	v_addc_co_u32_e32 v1, vcc, v20, v1, vcc
	global_load_dwordx2 v[0:1], v[0:1], off
	v_mov_b32_e32 v20, s27
	s_waitcnt vmcnt(0)
	v_subrev_co_u32_e32 v0, vcc, s23, v0
	v_subb_co_u32_e32 v1, vcc, v1, v20, vcc
.LBB23_9:
	s_or_b64 exec, exec, s[8:9]
	v_subrev_co_u32_e32 v20, vcc, s25, v4
	v_subbrev_co_u32_e32 v21, vcc, 0, v5, vcc
	s_mov_b32 s24, s25
	v_cmp_lt_i64_e32 vcc, v[4:5], v[6:7]
	v_pk_mov_b32 v[22:23], s[14:15], s[14:15] op_sel:[0,1]
	s_and_saveexec_b64 s[8:9], vcc
	s_cbranch_execz .LBB23_11
; %bb.10:
	v_lshlrev_b64 v[4:5], 3, v[20:21]
	v_mov_b32_e32 v22, s19
	v_add_co_u32_e32 v4, vcc, s18, v4
	v_addc_co_u32_e32 v5, vcc, v22, v5, vcc
	global_load_dwordx2 v[4:5], v[4:5], off
	v_mov_b32_e32 v23, s22
	s_waitcnt vmcnt(0)
	v_subrev_co_u32_e32 v22, vcc, s24, v4
	v_subb_co_u32_e32 v23, vcc, v5, v23, vcc
.LBB23_11:
	s_or_b64 exec, exec, s[8:9]
	v_and_b32_e32 v4, 0xc0, v24
	v_or_b32_e32 v36, 0x1000, v4
	v_lshlrev_b32_e32 v37, 4, v4
	v_mov_b32_e32 v5, s27
	v_subrev_co_u32_e32 v4, vcc, s23, v2
	v_subb_co_u32_e32 v5, vcc, v3, v5, vcc
	v_mov_b32_e32 v2, s22
	v_subrev_co_u32_e32 v6, vcc, s24, v6
	v_subb_co_u32_e32 v7, vcc, v7, v2, vcc
	v_subrev_co_u32_e32 v16, vcc, s26, v16
	v_subbrev_co_u32_e32 v17, vcc, 0, v17, vcc
	v_and_b32_e32 v2, 63, v24
	v_cmp_lt_i64_e32 vcc, v[22:23], v[0:1]
	v_cndmask_b32_e32 v25, v1, v23, vcc
	v_cndmask_b32_e32 v24, v0, v22, vcc
	v_add_co_u32_e32 v18, vcc, v18, v2
	v_addc_co_u32_e32 v19, vcc, 0, v19, vcc
	v_mbcnt_lo_u32_b32 v1, -1, 0
	v_add_co_u32_e32 v20, vcc, v20, v2
	v_mbcnt_hi_u32_b32 v1, -1, v1
	v_addc_co_u32_e32 v21, vcc, 0, v21, vcc
	v_and_b32_e32 v3, 64, v1
	v_add_u32_e32 v3, 64, v3
	v_add_co_u32_e32 v39, vcc, s26, v2
	v_xor_b32_e32 v26, 32, v1
	v_addc_co_u32_e64 v40, s[8:9], 0, 0, vcc
	v_cmp_lt_i32_e32 vcc, v26, v3
	v_cndmask_b32_e32 v26, v1, v26, vcc
	v_lshlrev_b32_e32 v41, 2, v26
	v_xor_b32_e32 v26, 16, v1
	v_cmp_lt_i32_e32 vcc, v26, v3
	v_cndmask_b32_e32 v26, v1, v26, vcc
	v_lshlrev_b32_e32 v42, 2, v26
	v_xor_b32_e32 v26, 8, v1
	;; [unrolled: 4-line block ×3, first 2 shown]
	v_cmp_lt_i32_e32 vcc, v26, v3
	v_cndmask_b32_e32 v26, v1, v26, vcc
	s_add_u32 s25, s4, -8
	v_lshlrev_b32_e32 v44, 2, v26
	v_xor_b32_e32 v26, 2, v1
	s_addc_u32 s26, s5, -1
	v_cmp_lt_i32_e32 vcc, v26, v3
	s_add_u32 s28, s6, -16
	v_cndmask_b32_e32 v26, v1, v26, vcc
	s_addc_u32 s29, s7, -1
	v_lshlrev_b32_e32 v45, 2, v26
	v_xor_b32_e32 v26, 1, v1
	s_add_u32 s30, s12, 8
	v_cmp_lt_i32_e32 vcc, v26, v3
	s_addc_u32 s31, s13, 0
	v_mov_b32_e32 v0, 0
	v_xor_b32_e32 v22, 63, v2
	v_cndmask_b32_e32 v1, v1, v26, vcc
	s_add_u32 s20, s20, 8
	v_lshl_or_b32 v38, v2, 4, v37
	v_lshrrev_b64 v[22:23], v22, -1
	v_lshlrev_b32_e32 v46, 2, v1
	s_addc_u32 s21, s21, 0
	s_mov_b64 s[6:7], 0
	v_add_u32_e32 v47, v36, v2
	v_mov_b32_e32 v1, v0
	v_mov_b32_e32 v2, v0
	;; [unrolled: 1-line block ×4, first 2 shown]
	s_branch .LBB23_13
.LBB23_12:                              ;   in Loop: Header=BB23_13 Depth=1
	s_or_b64 exec, exec, s[8:9]
	ds_bpermute_b32 v24, v41, v26
	ds_bpermute_b32 v25, v41, v27
	s_waitcnt lgkmcnt(0)
	v_cmp_lt_i64_e64 s[4:5], v[24:25], v[26:27]
	v_cndmask_b32_e64 v25, v27, v25, s[4:5]
	v_cndmask_b32_e64 v24, v26, v24, s[4:5]
	ds_bpermute_b32 v27, v42, v25
	ds_bpermute_b32 v26, v42, v24
	s_waitcnt lgkmcnt(0)
	v_cmp_lt_i64_e64 s[4:5], v[26:27], v[24:25]
	v_cndmask_b32_e64 v25, v25, v27, s[4:5]
	v_cndmask_b32_e64 v24, v24, v26, s[4:5]
	;; [unrolled: 6-line block ×5, first 2 shown]
	ds_bpermute_b32 v27, v46, v25
	ds_bpermute_b32 v26, v46, v24
	s_bcnt1_i32_b64 s4, vcc
	s_waitcnt lgkmcnt(0)
	v_cmp_lt_i64_e32 vcc, v[26:27], v[24:25]
	v_cndmask_b32_e32 v25, v25, v27, vcc
	v_cndmask_b32_e32 v24, v24, v26, vcc
	v_cmp_le_i64_e32 vcc, s[14:15], v[24:25]
	s_or_b64 s[6:7], vcc, s[6:7]
	v_add_co_u32_e32 v16, vcc, s4, v16
	v_addc_co_u32_e32 v17, vcc, 0, v17, vcc
	s_andn2_b64 exec, exec, s[6:7]
	s_cbranch_execz .LBB23_35
.LBB23_13:                              ; =>This Loop Header: Depth=1
                                        ;     Child Loop BB23_16 Depth 2
                                        ;     Child Loop BB23_26 Depth 2
	v_cmp_lt_i64_e32 vcc, v[18:19], v[4:5]
	v_pk_mov_b32 v[26:27], s[14:15], s[14:15] op_sel:[0,1]
	ds_write_b8 v47, v0
	ds_write_b128 v38, v[0:3]
	s_waitcnt lgkmcnt(0)
	s_and_saveexec_b64 s[8:9], vcc
	s_cbranch_execz .LBB23_23
; %bb.14:                               ;   in Loop: Header=BB23_13 Depth=1
	v_lshlrev_b64 v[26:27], 3, v[18:19]
	v_mov_b32_e32 v29, s11
	v_add_co_u32_e32 v28, vcc, s10, v26
	v_addc_co_u32_e32 v29, vcc, v29, v27, vcc
	v_lshlrev_b64 v[26:27], 4, v[18:19]
	v_mov_b32_e32 v31, s31
	v_add_co_u32_e32 v30, vcc, s30, v26
	v_addc_co_u32_e32 v31, vcc, v31, v27, vcc
	s_mov_b64 s[12:13], 0
	v_pk_mov_b32 v[26:27], s[14:15], s[14:15] op_sel:[0,1]
	s_branch .LBB23_16
.LBB23_15:                              ;   in Loop: Header=BB23_16 Depth=2
	s_or_b64 exec, exec, s[4:5]
	s_and_b64 s[4:5], exec, s[16:17]
	s_or_b64 s[12:13], s[4:5], s[12:13]
	s_andn2_b64 exec, exec, s[12:13]
	s_cbranch_execz .LBB23_22
.LBB23_16:                              ;   Parent Loop BB23_13 Depth=1
                                        ; =>  This Inner Loop Header: Depth=2
	global_load_dwordx2 v[32:33], v[28:29], off
	v_mov_b32_e32 v35, s27
	s_waitcnt vmcnt(0)
	v_subrev_co_u32_e32 v34, vcc, s23, v32
	v_subb_co_u32_e32 v35, vcc, v33, v35, vcc
	v_sub_co_u32_e32 v32, vcc, v34, v24
	v_subb_co_u32_e32 v33, vcc, v35, v25, vcc
	v_cmp_gt_i64_e32 vcc, 64, v[32:33]
	v_cmp_lt_i64_e64 s[4:5], 63, v[32:33]
	s_and_saveexec_b64 s[16:17], s[4:5]
	s_xor_b64 s[16:17], exec, s[16:17]
	s_cbranch_execnz .LBB23_19
; %bb.17:                               ;   in Loop: Header=BB23_16 Depth=2
	s_andn2_saveexec_b64 s[4:5], s[16:17]
	s_cbranch_execnz .LBB23_20
.LBB23_18:                              ;   in Loop: Header=BB23_16 Depth=2
	s_or_b64 exec, exec, s[4:5]
	s_mov_b64 s[16:17], -1
	s_and_saveexec_b64 s[4:5], vcc
	s_cbranch_execz .LBB23_15
	s_branch .LBB23_21
.LBB23_19:                              ;   in Loop: Header=BB23_16 Depth=2
	v_cmp_lt_i64_e64 s[4:5], v[34:35], v[26:27]
	v_cndmask_b32_e64 v27, v27, v35, s[4:5]
	v_cndmask_b32_e64 v26, v26, v34, s[4:5]
                                        ; implicit-def: $vgpr32
	s_andn2_saveexec_b64 s[4:5], s[16:17]
	s_cbranch_execz .LBB23_18
.LBB23_20:                              ;   in Loop: Header=BB23_16 Depth=2
	global_load_dwordx4 v[50:53], v[30:31], off offset:-8
	v_add_u32_e32 v33, v36, v32
	v_lshl_add_u32 v32, v32, 4, v37
	ds_write_b8 v33, v48
	s_waitcnt vmcnt(0)
	v_mul_f64 v[54:55], v[52:53], -v[12:13]
	v_mul_f64 v[56:57], v[8:9], v[52:53]
	v_fmac_f64_e32 v[54:55], v[8:9], v[50:51]
	v_fmac_f64_e32 v[56:57], v[12:13], v[50:51]
	ds_write_b128 v32, v[54:57]
	s_or_b64 exec, exec, s[4:5]
	s_mov_b64 s[16:17], -1
	s_and_saveexec_b64 s[4:5], vcc
	s_cbranch_execz .LBB23_15
.LBB23_21:                              ;   in Loop: Header=BB23_16 Depth=2
	v_add_co_u32_e32 v18, vcc, 64, v18
	v_addc_co_u32_e32 v19, vcc, 0, v19, vcc
	v_add_co_u32_e32 v28, vcc, 0x200, v28
	v_addc_co_u32_e32 v29, vcc, 0, v29, vcc
	;; [unrolled: 2-line block ×3, first 2 shown]
	v_cmp_ge_i64_e32 vcc, v[18:19], v[4:5]
	s_orn2_b64 s[16:17], vcc, exec
	s_branch .LBB23_15
.LBB23_22:                              ;   in Loop: Header=BB23_13 Depth=1
	s_or_b64 exec, exec, s[12:13]
.LBB23_23:                              ;   in Loop: Header=BB23_13 Depth=1
	s_or_b64 exec, exec, s[8:9]
	v_cmp_lt_i64_e32 vcc, v[20:21], v[6:7]
	s_waitcnt lgkmcnt(0)
	s_and_saveexec_b64 s[8:9], vcc
	s_cbranch_execz .LBB23_33
; %bb.24:                               ;   in Loop: Header=BB23_13 Depth=1
	v_lshlrev_b64 v[28:29], 3, v[20:21]
	v_mov_b32_e32 v30, s19
	v_add_co_u32_e32 v28, vcc, s18, v28
	v_addc_co_u32_e32 v29, vcc, v30, v29, vcc
	v_lshlrev_b64 v[30:31], 4, v[20:21]
	v_mov_b32_e32 v32, s21
	v_add_co_u32_e32 v30, vcc, s20, v30
	v_addc_co_u32_e32 v31, vcc, v32, v31, vcc
	s_mov_b64 s[12:13], 0
	s_branch .LBB23_26
.LBB23_25:                              ;   in Loop: Header=BB23_26 Depth=2
	s_or_b64 exec, exec, s[4:5]
	s_and_b64 s[4:5], exec, s[16:17]
	s_or_b64 s[12:13], s[4:5], s[12:13]
	s_andn2_b64 exec, exec, s[12:13]
	s_cbranch_execz .LBB23_32
.LBB23_26:                              ;   Parent Loop BB23_13 Depth=1
                                        ; =>  This Inner Loop Header: Depth=2
	global_load_dwordx2 v[32:33], v[28:29], off
	v_mov_b32_e32 v35, s22
	s_waitcnt vmcnt(0)
	v_subrev_co_u32_e32 v34, vcc, s24, v32
	v_subb_co_u32_e32 v35, vcc, v33, v35, vcc
	v_sub_co_u32_e32 v32, vcc, v34, v24
	v_subb_co_u32_e32 v33, vcc, v35, v25, vcc
	v_cmp_gt_i64_e32 vcc, 64, v[32:33]
	v_cmp_lt_i64_e64 s[4:5], 63, v[32:33]
	s_and_saveexec_b64 s[16:17], s[4:5]
	s_xor_b64 s[16:17], exec, s[16:17]
	s_cbranch_execnz .LBB23_29
; %bb.27:                               ;   in Loop: Header=BB23_26 Depth=2
	s_andn2_saveexec_b64 s[4:5], s[16:17]
	s_cbranch_execnz .LBB23_30
.LBB23_28:                              ;   in Loop: Header=BB23_26 Depth=2
	s_or_b64 exec, exec, s[4:5]
	s_mov_b64 s[16:17], -1
	s_and_saveexec_b64 s[4:5], vcc
	s_cbranch_execz .LBB23_25
	s_branch .LBB23_31
.LBB23_29:                              ;   in Loop: Header=BB23_26 Depth=2
	v_cmp_lt_i64_e64 s[4:5], v[34:35], v[26:27]
	v_cndmask_b32_e64 v27, v27, v35, s[4:5]
	v_cndmask_b32_e64 v26, v26, v34, s[4:5]
                                        ; implicit-def: $vgpr32
	s_andn2_saveexec_b64 s[4:5], s[16:17]
	s_cbranch_execz .LBB23_28
.LBB23_30:                              ;   in Loop: Header=BB23_26 Depth=2
	global_load_dwordx4 v[50:53], v[30:31], off offset:-8
	v_lshl_add_u32 v33, v32, 4, v37
	ds_read_b128 v[54:57], v33
	v_add_u32_e32 v32, v36, v32
	ds_write_b8 v32, v48
	s_waitcnt vmcnt(0) lgkmcnt(1)
	v_fmac_f64_e32 v[54:55], v[14:15], v[50:51]
	v_fmac_f64_e32 v[56:57], v[10:11], v[50:51]
	v_fma_f64 v[54:55], -v[10:11], v[52:53], v[54:55]
	v_fmac_f64_e32 v[56:57], v[14:15], v[52:53]
	ds_write_b128 v33, v[54:57]
	s_or_b64 exec, exec, s[4:5]
	s_mov_b64 s[16:17], -1
	s_and_saveexec_b64 s[4:5], vcc
	s_cbranch_execz .LBB23_25
.LBB23_31:                              ;   in Loop: Header=BB23_26 Depth=2
	v_add_co_u32_e32 v20, vcc, 64, v20
	v_addc_co_u32_e32 v21, vcc, 0, v21, vcc
	v_add_co_u32_e32 v28, vcc, 0x200, v28
	v_addc_co_u32_e32 v29, vcc, 0, v29, vcc
	;; [unrolled: 2-line block ×3, first 2 shown]
	v_cmp_ge_i64_e32 vcc, v[20:21], v[6:7]
	s_orn2_b64 s[16:17], vcc, exec
	s_branch .LBB23_25
.LBB23_32:                              ;   in Loop: Header=BB23_13 Depth=1
	s_or_b64 exec, exec, s[12:13]
.LBB23_33:                              ;   in Loop: Header=BB23_13 Depth=1
	s_or_b64 exec, exec, s[8:9]
	s_waitcnt lgkmcnt(0)
	ds_read_u8 v28, v47
	s_waitcnt lgkmcnt(0)
	v_and_b32_e32 v29, 1, v28
	v_cmp_eq_u32_e64 s[4:5], 1, v29
	v_cmp_ne_u16_e32 vcc, 0, v28
	s_and_saveexec_b64 s[8:9], s[4:5]
	s_cbranch_execz .LBB23_12
; %bb.34:                               ;   in Loop: Header=BB23_13 Depth=1
	v_and_b32_e32 v29, vcc_lo, v22
	v_and_b32_e32 v28, vcc_hi, v23
	v_bcnt_u32_b32 v29, v29, 0
	v_add_co_u32_e64 v24, s[4:5], v39, v24
	v_bcnt_u32_b32 v28, v28, v29
	v_addc_co_u32_e64 v25, s[4:5], v40, v25, s[4:5]
	v_add_co_u32_e64 v28, s[4:5], v16, v28
	v_addc_co_u32_e64 v29, s[4:5], 0, v17, s[4:5]
	v_lshlrev_b64 v[30:31], 3, v[28:29]
	v_mov_b32_e32 v32, s26
	v_add_co_u32_e64 v30, s[4:5], s25, v30
	v_addc_co_u32_e64 v31, s[4:5], v32, v31, s[4:5]
	global_store_dwordx2 v[30:31], v[24:25], off
	v_lshlrev_b64 v[24:25], 4, v[28:29]
	ds_read2_b64 v[28:31], v38 offset1:1
	v_mov_b32_e32 v32, s29
	v_add_co_u32_e64 v24, s[4:5], s28, v24
	v_addc_co_u32_e64 v25, s[4:5], v32, v25, s[4:5]
	s_waitcnt lgkmcnt(0)
	global_store_dwordx4 v[24:25], v[28:31], off
	s_branch .LBB23_12
.LBB23_35:
	s_endpgm
	.section	.rodata,"a",@progbits
	.p2align	6, 0x0
	.amdhsa_kernel _ZN9rocsparseL29csrgeam_fill_multipass_kernelILj256ELj64Ell21rocsparse_complex_numIdEEEvllNS_24const_host_device_scalarIT3_EEPKT1_PKT2_PKS4_S5_S8_SB_SD_S8_PS9_PS4_21rocsparse_index_base_SG_SG_bbb
		.amdhsa_group_segment_fixed_size 6400
		.amdhsa_private_segment_fixed_size 16
		.amdhsa_kernarg_size 136
		.amdhsa_user_sgpr_count 10
		.amdhsa_user_sgpr_private_segment_buffer 1
		.amdhsa_user_sgpr_dispatch_ptr 1
		.amdhsa_user_sgpr_queue_ptr 0
		.amdhsa_user_sgpr_kernarg_segment_ptr 1
		.amdhsa_user_sgpr_dispatch_id 0
		.amdhsa_user_sgpr_flat_scratch_init 1
		.amdhsa_user_sgpr_kernarg_preload_length 0
		.amdhsa_user_sgpr_kernarg_preload_offset 0
		.amdhsa_user_sgpr_private_segment_size 0
		.amdhsa_uses_dynamic_stack 0
		.amdhsa_system_sgpr_private_segment_wavefront_offset 1
		.amdhsa_system_sgpr_workgroup_id_x 1
		.amdhsa_system_sgpr_workgroup_id_y 0
		.amdhsa_system_sgpr_workgroup_id_z 0
		.amdhsa_system_sgpr_workgroup_info 0
		.amdhsa_system_vgpr_workitem_id 2
		.amdhsa_next_free_vgpr 58
		.amdhsa_next_free_sgpr 32
		.amdhsa_accum_offset 60
		.amdhsa_reserve_vcc 1
		.amdhsa_reserve_flat_scratch 1
		.amdhsa_float_round_mode_32 0
		.amdhsa_float_round_mode_16_64 0
		.amdhsa_float_denorm_mode_32 3
		.amdhsa_float_denorm_mode_16_64 3
		.amdhsa_dx10_clamp 1
		.amdhsa_ieee_mode 1
		.amdhsa_fp16_overflow 0
		.amdhsa_tg_split 0
		.amdhsa_exception_fp_ieee_invalid_op 0
		.amdhsa_exception_fp_denorm_src 0
		.amdhsa_exception_fp_ieee_div_zero 0
		.amdhsa_exception_fp_ieee_overflow 0
		.amdhsa_exception_fp_ieee_underflow 0
		.amdhsa_exception_fp_ieee_inexact 0
		.amdhsa_exception_int_div_zero 0
	.end_amdhsa_kernel
	.section	.text._ZN9rocsparseL29csrgeam_fill_multipass_kernelILj256ELj64Ell21rocsparse_complex_numIdEEEvllNS_24const_host_device_scalarIT3_EEPKT1_PKT2_PKS4_S5_S8_SB_SD_S8_PS9_PS4_21rocsparse_index_base_SG_SG_bbb,"axG",@progbits,_ZN9rocsparseL29csrgeam_fill_multipass_kernelILj256ELj64Ell21rocsparse_complex_numIdEEEvllNS_24const_host_device_scalarIT3_EEPKT1_PKT2_PKS4_S5_S8_SB_SD_S8_PS9_PS4_21rocsparse_index_base_SG_SG_bbb,comdat
.Lfunc_end23:
	.size	_ZN9rocsparseL29csrgeam_fill_multipass_kernelILj256ELj64Ell21rocsparse_complex_numIdEEEvllNS_24const_host_device_scalarIT3_EEPKT1_PKT2_PKS4_S5_S8_SB_SD_S8_PS9_PS4_21rocsparse_index_base_SG_SG_bbb, .Lfunc_end23-_ZN9rocsparseL29csrgeam_fill_multipass_kernelILj256ELj64Ell21rocsparse_complex_numIdEEEvllNS_24const_host_device_scalarIT3_EEPKT1_PKT2_PKS4_S5_S8_SB_SD_S8_PS9_PS4_21rocsparse_index_base_SG_SG_bbb
                                        ; -- End function
	.section	.AMDGPU.csdata,"",@progbits
; Kernel info:
; codeLenInByte = 2132
; NumSgprs: 38
; NumVgprs: 58
; NumAgprs: 0
; TotalNumVgprs: 58
; ScratchSize: 16
; MemoryBound: 0
; FloatMode: 240
; IeeeMode: 1
; LDSByteSize: 6400 bytes/workgroup (compile time only)
; SGPRBlocks: 4
; VGPRBlocks: 7
; NumSGPRsForWavesPerEU: 38
; NumVGPRsForWavesPerEU: 58
; AccumOffset: 60
; Occupancy: 8
; WaveLimiterHint : 1
; COMPUTE_PGM_RSRC2:SCRATCH_EN: 1
; COMPUTE_PGM_RSRC2:USER_SGPR: 10
; COMPUTE_PGM_RSRC2:TRAP_HANDLER: 0
; COMPUTE_PGM_RSRC2:TGID_X_EN: 1
; COMPUTE_PGM_RSRC2:TGID_Y_EN: 0
; COMPUTE_PGM_RSRC2:TGID_Z_EN: 0
; COMPUTE_PGM_RSRC2:TIDIG_COMP_CNT: 2
; COMPUTE_PGM_RSRC3_GFX90A:ACCUM_OFFSET: 14
; COMPUTE_PGM_RSRC3_GFX90A:TG_SPLIT: 0
	.text
	.p2alignl 6, 3212836864
	.fill 256, 4, 3212836864
	.type	__hip_cuid_505b6dc58165a25d,@object ; @__hip_cuid_505b6dc58165a25d
	.section	.bss,"aw",@nobits
	.globl	__hip_cuid_505b6dc58165a25d
__hip_cuid_505b6dc58165a25d:
	.byte	0                               ; 0x0
	.size	__hip_cuid_505b6dc58165a25d, 1

	.ident	"AMD clang version 19.0.0git (https://github.com/RadeonOpenCompute/llvm-project roc-6.4.0 25133 c7fe45cf4b819c5991fe208aaa96edf142730f1d)"
	.section	".note.GNU-stack","",@progbits
	.addrsig
	.addrsig_sym __hip_cuid_505b6dc58165a25d
	.amdgpu_metadata
---
amdhsa.kernels:
  - .agpr_count:     0
    .args:
      - .offset:         0
        .size:           8
        .value_kind:     by_value
      - .offset:         8
        .size:           8
        .value_kind:     by_value
      - .offset:         16
        .size:           8
        .value_kind:     by_value
      - .actual_access:  read_only
        .address_space:  global
        .offset:         24
        .size:           8
        .value_kind:     global_buffer
      - .actual_access:  read_only
        .address_space:  global
        .offset:         32
        .size:           8
        .value_kind:     global_buffer
      - .actual_access:  read_only
        .address_space:  global
        .offset:         40
        .size:           8
        .value_kind:     global_buffer
      - .offset:         48
        .size:           8
        .value_kind:     by_value
      - .actual_access:  read_only
        .address_space:  global
        .offset:         56
        .size:           8
        .value_kind:     global_buffer
      - .actual_access:  read_only
        .address_space:  global
        .offset:         64
        .size:           8
        .value_kind:     global_buffer
      - .actual_access:  read_only
        .address_space:  global
        .offset:         72
        .size:           8
        .value_kind:     global_buffer
      - .actual_access:  read_only
        .address_space:  global
        .offset:         80
        .size:           8
        .value_kind:     global_buffer
      - .actual_access:  write_only
        .address_space:  global
        .offset:         88
        .size:           8
        .value_kind:     global_buffer
      - .actual_access:  write_only
        .address_space:  global
        .offset:         96
        .size:           8
        .value_kind:     global_buffer
      - .offset:         104
        .size:           4
        .value_kind:     by_value
      - .offset:         108
        .size:           4
        .value_kind:     by_value
      - .offset:         112
        .size:           4
        .value_kind:     by_value
      - .offset:         116
        .size:           1
        .value_kind:     by_value
      - .offset:         117
        .size:           1
        .value_kind:     by_value
      - .offset:         118
        .size:           1
        .value_kind:     by_value
    .group_segment_fixed_size: 1280
    .kernarg_segment_align: 8
    .kernarg_segment_size: 120
    .language:       OpenCL C
    .language_version:
      - 2
      - 0
    .max_flat_workgroup_size: 256
    .name:           _ZN9rocsparseL29csrgeam_fill_multipass_kernelILj256ELj32EiifEEvllNS_24const_host_device_scalarIT3_EEPKT1_PKT2_PKS2_S3_S6_S9_SB_S6_PS7_PS2_21rocsparse_index_base_SE_SE_bbb
    .private_segment_fixed_size: 0
    .sgpr_count:     30
    .sgpr_spill_count: 0
    .symbol:         _ZN9rocsparseL29csrgeam_fill_multipass_kernelILj256ELj32EiifEEvllNS_24const_host_device_scalarIT3_EEPKT1_PKT2_PKS2_S3_S6_S9_SB_S6_PS7_PS2_21rocsparse_index_base_SE_SE_bbb.kd
    .uniform_work_group_size: 1
    .uses_dynamic_stack: false
    .vgpr_count:     30
    .vgpr_spill_count: 0
    .wavefront_size: 64
  - .agpr_count:     0
    .args:
      - .offset:         0
        .size:           8
        .value_kind:     by_value
      - .offset:         8
        .size:           8
        .value_kind:     by_value
      - .offset:         16
        .size:           8
        .value_kind:     by_value
      - .actual_access:  read_only
        .address_space:  global
        .offset:         24
        .size:           8
        .value_kind:     global_buffer
      - .actual_access:  read_only
        .address_space:  global
        .offset:         32
        .size:           8
        .value_kind:     global_buffer
      - .actual_access:  read_only
        .address_space:  global
        .offset:         40
        .size:           8
        .value_kind:     global_buffer
      - .offset:         48
        .size:           8
        .value_kind:     by_value
      - .actual_access:  read_only
        .address_space:  global
        .offset:         56
        .size:           8
        .value_kind:     global_buffer
      - .actual_access:  read_only
        .address_space:  global
        .offset:         64
        .size:           8
        .value_kind:     global_buffer
      - .actual_access:  read_only
        .address_space:  global
        .offset:         72
        .size:           8
        .value_kind:     global_buffer
      - .actual_access:  read_only
        .address_space:  global
        .offset:         80
        .size:           8
        .value_kind:     global_buffer
      - .actual_access:  write_only
        .address_space:  global
        .offset:         88
        .size:           8
        .value_kind:     global_buffer
      - .actual_access:  write_only
        .address_space:  global
        .offset:         96
        .size:           8
        .value_kind:     global_buffer
      - .offset:         104
        .size:           4
        .value_kind:     by_value
      - .offset:         108
        .size:           4
        .value_kind:     by_value
      - .offset:         112
        .size:           4
        .value_kind:     by_value
      - .offset:         116
        .size:           1
        .value_kind:     by_value
      - .offset:         117
        .size:           1
        .value_kind:     by_value
      - .offset:         118
        .size:           1
        .value_kind:     by_value
    .group_segment_fixed_size: 1280
    .kernarg_segment_align: 8
    .kernarg_segment_size: 120
    .language:       OpenCL C
    .language_version:
      - 2
      - 0
    .max_flat_workgroup_size: 256
    .name:           _ZN9rocsparseL29csrgeam_fill_multipass_kernelILj256ELj64EiifEEvllNS_24const_host_device_scalarIT3_EEPKT1_PKT2_PKS2_S3_S6_S9_SB_S6_PS7_PS2_21rocsparse_index_base_SE_SE_bbb
    .private_segment_fixed_size: 0
    .sgpr_count:     30
    .sgpr_spill_count: 0
    .symbol:         _ZN9rocsparseL29csrgeam_fill_multipass_kernelILj256ELj64EiifEEvllNS_24const_host_device_scalarIT3_EEPKT1_PKT2_PKS2_S3_S6_S9_SB_S6_PS7_PS2_21rocsparse_index_base_SE_SE_bbb.kd
    .uniform_work_group_size: 1
    .uses_dynamic_stack: false
    .vgpr_count:     32
    .vgpr_spill_count: 0
    .wavefront_size: 64
  - .agpr_count:     0
    .args:
      - .offset:         0
        .size:           8
        .value_kind:     by_value
      - .offset:         8
        .size:           8
        .value_kind:     by_value
      - .offset:         16
        .size:           8
        .value_kind:     by_value
      - .actual_access:  read_only
        .address_space:  global
        .offset:         24
        .size:           8
        .value_kind:     global_buffer
      - .actual_access:  read_only
        .address_space:  global
        .offset:         32
        .size:           8
        .value_kind:     global_buffer
      - .actual_access:  read_only
        .address_space:  global
        .offset:         40
        .size:           8
        .value_kind:     global_buffer
      - .offset:         48
        .size:           8
        .value_kind:     by_value
      - .actual_access:  read_only
        .address_space:  global
        .offset:         56
        .size:           8
        .value_kind:     global_buffer
      - .actual_access:  read_only
        .address_space:  global
        .offset:         64
        .size:           8
        .value_kind:     global_buffer
      - .actual_access:  read_only
        .address_space:  global
        .offset:         72
        .size:           8
        .value_kind:     global_buffer
      - .actual_access:  read_only
        .address_space:  global
        .offset:         80
        .size:           8
        .value_kind:     global_buffer
      - .actual_access:  write_only
        .address_space:  global
        .offset:         88
        .size:           8
        .value_kind:     global_buffer
      - .actual_access:  write_only
        .address_space:  global
        .offset:         96
        .size:           8
        .value_kind:     global_buffer
      - .offset:         104
        .size:           4
        .value_kind:     by_value
      - .offset:         108
        .size:           4
        .value_kind:     by_value
      - .offset:         112
        .size:           4
        .value_kind:     by_value
      - .offset:         116
        .size:           1
        .value_kind:     by_value
      - .offset:         117
        .size:           1
        .value_kind:     by_value
      - .offset:         118
        .size:           1
        .value_kind:     by_value
    .group_segment_fixed_size: 1280
    .kernarg_segment_align: 8
    .kernarg_segment_size: 120
    .language:       OpenCL C
    .language_version:
      - 2
      - 0
    .max_flat_workgroup_size: 256
    .name:           _ZN9rocsparseL29csrgeam_fill_multipass_kernelILj256ELj32ElifEEvllNS_24const_host_device_scalarIT3_EEPKT1_PKT2_PKS2_S3_S6_S9_SB_S6_PS7_PS2_21rocsparse_index_base_SE_SE_bbb
    .private_segment_fixed_size: 0
    .sgpr_count:     30
    .sgpr_spill_count: 0
    .symbol:         _ZN9rocsparseL29csrgeam_fill_multipass_kernelILj256ELj32ElifEEvllNS_24const_host_device_scalarIT3_EEPKT1_PKT2_PKS2_S3_S6_S9_SB_S6_PS7_PS2_21rocsparse_index_base_SE_SE_bbb.kd
    .uniform_work_group_size: 1
    .uses_dynamic_stack: false
    .vgpr_count:     36
    .vgpr_spill_count: 0
    .wavefront_size: 64
  - .agpr_count:     0
    .args:
      - .offset:         0
        .size:           8
        .value_kind:     by_value
      - .offset:         8
        .size:           8
        .value_kind:     by_value
      - .offset:         16
        .size:           8
        .value_kind:     by_value
      - .actual_access:  read_only
        .address_space:  global
        .offset:         24
        .size:           8
        .value_kind:     global_buffer
      - .actual_access:  read_only
        .address_space:  global
        .offset:         32
        .size:           8
        .value_kind:     global_buffer
      - .actual_access:  read_only
        .address_space:  global
        .offset:         40
        .size:           8
        .value_kind:     global_buffer
      - .offset:         48
        .size:           8
        .value_kind:     by_value
      - .actual_access:  read_only
        .address_space:  global
        .offset:         56
        .size:           8
        .value_kind:     global_buffer
      - .actual_access:  read_only
        .address_space:  global
        .offset:         64
        .size:           8
        .value_kind:     global_buffer
      - .actual_access:  read_only
        .address_space:  global
        .offset:         72
        .size:           8
        .value_kind:     global_buffer
      - .actual_access:  read_only
        .address_space:  global
        .offset:         80
        .size:           8
        .value_kind:     global_buffer
      - .actual_access:  write_only
        .address_space:  global
        .offset:         88
        .size:           8
        .value_kind:     global_buffer
      - .actual_access:  write_only
        .address_space:  global
        .offset:         96
        .size:           8
        .value_kind:     global_buffer
      - .offset:         104
        .size:           4
        .value_kind:     by_value
      - .offset:         108
        .size:           4
        .value_kind:     by_value
      - .offset:         112
        .size:           4
        .value_kind:     by_value
      - .offset:         116
        .size:           1
        .value_kind:     by_value
      - .offset:         117
        .size:           1
        .value_kind:     by_value
      - .offset:         118
        .size:           1
        .value_kind:     by_value
    .group_segment_fixed_size: 1280
    .kernarg_segment_align: 8
    .kernarg_segment_size: 120
    .language:       OpenCL C
    .language_version:
      - 2
      - 0
    .max_flat_workgroup_size: 256
    .name:           _ZN9rocsparseL29csrgeam_fill_multipass_kernelILj256ELj64ElifEEvllNS_24const_host_device_scalarIT3_EEPKT1_PKT2_PKS2_S3_S6_S9_SB_S6_PS7_PS2_21rocsparse_index_base_SE_SE_bbb
    .private_segment_fixed_size: 0
    .sgpr_count:     30
    .sgpr_spill_count: 0
    .symbol:         _ZN9rocsparseL29csrgeam_fill_multipass_kernelILj256ELj64ElifEEvllNS_24const_host_device_scalarIT3_EEPKT1_PKT2_PKS2_S3_S6_S9_SB_S6_PS7_PS2_21rocsparse_index_base_SE_SE_bbb.kd
    .uniform_work_group_size: 1
    .uses_dynamic_stack: false
    .vgpr_count:     38
    .vgpr_spill_count: 0
    .wavefront_size: 64
  - .agpr_count:     0
    .args:
      - .offset:         0
        .size:           8
        .value_kind:     by_value
      - .offset:         8
        .size:           8
        .value_kind:     by_value
      - .offset:         16
        .size:           8
        .value_kind:     by_value
      - .actual_access:  read_only
        .address_space:  global
        .offset:         24
        .size:           8
        .value_kind:     global_buffer
      - .actual_access:  read_only
        .address_space:  global
        .offset:         32
        .size:           8
        .value_kind:     global_buffer
      - .actual_access:  read_only
        .address_space:  global
        .offset:         40
        .size:           8
        .value_kind:     global_buffer
      - .offset:         48
        .size:           8
        .value_kind:     by_value
      - .actual_access:  read_only
        .address_space:  global
        .offset:         56
        .size:           8
        .value_kind:     global_buffer
      - .actual_access:  read_only
        .address_space:  global
        .offset:         64
        .size:           8
        .value_kind:     global_buffer
      - .actual_access:  read_only
        .address_space:  global
        .offset:         72
        .size:           8
        .value_kind:     global_buffer
      - .actual_access:  read_only
        .address_space:  global
        .offset:         80
        .size:           8
        .value_kind:     global_buffer
      - .actual_access:  write_only
        .address_space:  global
        .offset:         88
        .size:           8
        .value_kind:     global_buffer
      - .actual_access:  write_only
        .address_space:  global
        .offset:         96
        .size:           8
        .value_kind:     global_buffer
      - .offset:         104
        .size:           4
        .value_kind:     by_value
      - .offset:         108
        .size:           4
        .value_kind:     by_value
      - .offset:         112
        .size:           4
        .value_kind:     by_value
      - .offset:         116
        .size:           1
        .value_kind:     by_value
      - .offset:         117
        .size:           1
        .value_kind:     by_value
      - .offset:         118
        .size:           1
        .value_kind:     by_value
    .group_segment_fixed_size: 1280
    .kernarg_segment_align: 8
    .kernarg_segment_size: 120
    .language:       OpenCL C
    .language_version:
      - 2
      - 0
    .max_flat_workgroup_size: 256
    .name:           _ZN9rocsparseL29csrgeam_fill_multipass_kernelILj256ELj32EllfEEvllNS_24const_host_device_scalarIT3_EEPKT1_PKT2_PKS2_S3_S6_S9_SB_S6_PS7_PS2_21rocsparse_index_base_SE_SE_bbb
    .private_segment_fixed_size: 0
    .sgpr_count:     32
    .sgpr_spill_count: 0
    .symbol:         _ZN9rocsparseL29csrgeam_fill_multipass_kernelILj256ELj32EllfEEvllNS_24const_host_device_scalarIT3_EEPKT1_PKT2_PKS2_S3_S6_S9_SB_S6_PS7_PS2_21rocsparse_index_base_SE_SE_bbb.kd
    .uniform_work_group_size: 1
    .uses_dynamic_stack: false
    .vgpr_count:     38
    .vgpr_spill_count: 0
    .wavefront_size: 64
  - .agpr_count:     0
    .args:
      - .offset:         0
        .size:           8
        .value_kind:     by_value
      - .offset:         8
        .size:           8
        .value_kind:     by_value
      - .offset:         16
        .size:           8
        .value_kind:     by_value
      - .actual_access:  read_only
        .address_space:  global
        .offset:         24
        .size:           8
        .value_kind:     global_buffer
      - .actual_access:  read_only
        .address_space:  global
        .offset:         32
        .size:           8
        .value_kind:     global_buffer
      - .actual_access:  read_only
        .address_space:  global
        .offset:         40
        .size:           8
        .value_kind:     global_buffer
      - .offset:         48
        .size:           8
        .value_kind:     by_value
      - .actual_access:  read_only
        .address_space:  global
        .offset:         56
        .size:           8
        .value_kind:     global_buffer
      - .actual_access:  read_only
        .address_space:  global
        .offset:         64
        .size:           8
        .value_kind:     global_buffer
      - .actual_access:  read_only
        .address_space:  global
        .offset:         72
        .size:           8
        .value_kind:     global_buffer
      - .actual_access:  read_only
        .address_space:  global
        .offset:         80
        .size:           8
        .value_kind:     global_buffer
      - .actual_access:  write_only
        .address_space:  global
        .offset:         88
        .size:           8
        .value_kind:     global_buffer
      - .actual_access:  write_only
        .address_space:  global
        .offset:         96
        .size:           8
        .value_kind:     global_buffer
      - .offset:         104
        .size:           4
        .value_kind:     by_value
      - .offset:         108
        .size:           4
        .value_kind:     by_value
      - .offset:         112
        .size:           4
        .value_kind:     by_value
      - .offset:         116
        .size:           1
        .value_kind:     by_value
      - .offset:         117
        .size:           1
        .value_kind:     by_value
      - .offset:         118
        .size:           1
        .value_kind:     by_value
    .group_segment_fixed_size: 1280
    .kernarg_segment_align: 8
    .kernarg_segment_size: 120
    .language:       OpenCL C
    .language_version:
      - 2
      - 0
    .max_flat_workgroup_size: 256
    .name:           _ZN9rocsparseL29csrgeam_fill_multipass_kernelILj256ELj64EllfEEvllNS_24const_host_device_scalarIT3_EEPKT1_PKT2_PKS2_S3_S6_S9_SB_S6_PS7_PS2_21rocsparse_index_base_SE_SE_bbb
    .private_segment_fixed_size: 0
    .sgpr_count:     32
    .sgpr_spill_count: 0
    .symbol:         _ZN9rocsparseL29csrgeam_fill_multipass_kernelILj256ELj64EllfEEvllNS_24const_host_device_scalarIT3_EEPKT1_PKT2_PKS2_S3_S6_S9_SB_S6_PS7_PS2_21rocsparse_index_base_SE_SE_bbb.kd
    .uniform_work_group_size: 1
    .uses_dynamic_stack: false
    .vgpr_count:     40
    .vgpr_spill_count: 0
    .wavefront_size: 64
  - .agpr_count:     0
    .args:
      - .offset:         0
        .size:           8
        .value_kind:     by_value
      - .offset:         8
        .size:           8
        .value_kind:     by_value
      - .offset:         16
        .size:           8
        .value_kind:     by_value
      - .actual_access:  read_only
        .address_space:  global
        .offset:         24
        .size:           8
        .value_kind:     global_buffer
      - .actual_access:  read_only
        .address_space:  global
        .offset:         32
        .size:           8
        .value_kind:     global_buffer
      - .actual_access:  read_only
        .address_space:  global
        .offset:         40
        .size:           8
        .value_kind:     global_buffer
      - .offset:         48
        .size:           8
        .value_kind:     by_value
      - .actual_access:  read_only
        .address_space:  global
        .offset:         56
        .size:           8
        .value_kind:     global_buffer
      - .actual_access:  read_only
        .address_space:  global
        .offset:         64
        .size:           8
        .value_kind:     global_buffer
      - .actual_access:  read_only
        .address_space:  global
        .offset:         72
        .size:           8
        .value_kind:     global_buffer
      - .actual_access:  read_only
        .address_space:  global
        .offset:         80
        .size:           8
        .value_kind:     global_buffer
      - .actual_access:  write_only
        .address_space:  global
        .offset:         88
        .size:           8
        .value_kind:     global_buffer
      - .actual_access:  write_only
        .address_space:  global
        .offset:         96
        .size:           8
        .value_kind:     global_buffer
      - .offset:         104
        .size:           4
        .value_kind:     by_value
      - .offset:         108
        .size:           4
        .value_kind:     by_value
      - .offset:         112
        .size:           4
        .value_kind:     by_value
      - .offset:         116
        .size:           1
        .value_kind:     by_value
      - .offset:         117
        .size:           1
        .value_kind:     by_value
      - .offset:         118
        .size:           1
        .value_kind:     by_value
    .group_segment_fixed_size: 2304
    .kernarg_segment_align: 8
    .kernarg_segment_size: 120
    .language:       OpenCL C
    .language_version:
      - 2
      - 0
    .max_flat_workgroup_size: 256
    .name:           _ZN9rocsparseL29csrgeam_fill_multipass_kernelILj256ELj32EiidEEvllNS_24const_host_device_scalarIT3_EEPKT1_PKT2_PKS2_S3_S6_S9_SB_S6_PS7_PS2_21rocsparse_index_base_SE_SE_bbb
    .private_segment_fixed_size: 0
    .sgpr_count:     30
    .sgpr_spill_count: 0
    .symbol:         _ZN9rocsparseL29csrgeam_fill_multipass_kernelILj256ELj32EiidEEvllNS_24const_host_device_scalarIT3_EEPKT1_PKT2_PKS2_S3_S6_S9_SB_S6_PS7_PS2_21rocsparse_index_base_SE_SE_bbb.kd
    .uniform_work_group_size: 1
    .uses_dynamic_stack: false
    .vgpr_count:     36
    .vgpr_spill_count: 0
    .wavefront_size: 64
  - .agpr_count:     0
    .args:
      - .offset:         0
        .size:           8
        .value_kind:     by_value
      - .offset:         8
        .size:           8
        .value_kind:     by_value
      - .offset:         16
        .size:           8
        .value_kind:     by_value
      - .actual_access:  read_only
        .address_space:  global
        .offset:         24
        .size:           8
        .value_kind:     global_buffer
      - .actual_access:  read_only
        .address_space:  global
        .offset:         32
        .size:           8
        .value_kind:     global_buffer
      - .actual_access:  read_only
        .address_space:  global
        .offset:         40
        .size:           8
        .value_kind:     global_buffer
      - .offset:         48
        .size:           8
        .value_kind:     by_value
      - .actual_access:  read_only
        .address_space:  global
        .offset:         56
        .size:           8
        .value_kind:     global_buffer
      - .actual_access:  read_only
        .address_space:  global
        .offset:         64
        .size:           8
        .value_kind:     global_buffer
      - .actual_access:  read_only
        .address_space:  global
        .offset:         72
        .size:           8
        .value_kind:     global_buffer
      - .actual_access:  read_only
        .address_space:  global
        .offset:         80
        .size:           8
        .value_kind:     global_buffer
      - .actual_access:  write_only
        .address_space:  global
        .offset:         88
        .size:           8
        .value_kind:     global_buffer
      - .actual_access:  write_only
        .address_space:  global
        .offset:         96
        .size:           8
        .value_kind:     global_buffer
      - .offset:         104
        .size:           4
        .value_kind:     by_value
      - .offset:         108
        .size:           4
        .value_kind:     by_value
      - .offset:         112
        .size:           4
        .value_kind:     by_value
      - .offset:         116
        .size:           1
        .value_kind:     by_value
      - .offset:         117
        .size:           1
        .value_kind:     by_value
      - .offset:         118
        .size:           1
        .value_kind:     by_value
    .group_segment_fixed_size: 2304
    .kernarg_segment_align: 8
    .kernarg_segment_size: 120
    .language:       OpenCL C
    .language_version:
      - 2
      - 0
    .max_flat_workgroup_size: 256
    .name:           _ZN9rocsparseL29csrgeam_fill_multipass_kernelILj256ELj64EiidEEvllNS_24const_host_device_scalarIT3_EEPKT1_PKT2_PKS2_S3_S6_S9_SB_S6_PS7_PS2_21rocsparse_index_base_SE_SE_bbb
    .private_segment_fixed_size: 0
    .sgpr_count:     30
    .sgpr_spill_count: 0
    .symbol:         _ZN9rocsparseL29csrgeam_fill_multipass_kernelILj256ELj64EiidEEvllNS_24const_host_device_scalarIT3_EEPKT1_PKT2_PKS2_S3_S6_S9_SB_S6_PS7_PS2_21rocsparse_index_base_SE_SE_bbb.kd
    .uniform_work_group_size: 1
    .uses_dynamic_stack: false
    .vgpr_count:     36
    .vgpr_spill_count: 0
    .wavefront_size: 64
  - .agpr_count:     0
    .args:
      - .offset:         0
        .size:           8
        .value_kind:     by_value
      - .offset:         8
        .size:           8
        .value_kind:     by_value
      - .offset:         16
        .size:           8
        .value_kind:     by_value
      - .actual_access:  read_only
        .address_space:  global
        .offset:         24
        .size:           8
        .value_kind:     global_buffer
      - .actual_access:  read_only
        .address_space:  global
        .offset:         32
        .size:           8
        .value_kind:     global_buffer
      - .actual_access:  read_only
        .address_space:  global
        .offset:         40
        .size:           8
        .value_kind:     global_buffer
      - .offset:         48
        .size:           8
        .value_kind:     by_value
      - .actual_access:  read_only
        .address_space:  global
        .offset:         56
        .size:           8
        .value_kind:     global_buffer
      - .actual_access:  read_only
        .address_space:  global
        .offset:         64
        .size:           8
        .value_kind:     global_buffer
      - .actual_access:  read_only
        .address_space:  global
        .offset:         72
        .size:           8
        .value_kind:     global_buffer
      - .actual_access:  read_only
        .address_space:  global
        .offset:         80
        .size:           8
        .value_kind:     global_buffer
      - .actual_access:  write_only
        .address_space:  global
        .offset:         88
        .size:           8
        .value_kind:     global_buffer
      - .actual_access:  write_only
        .address_space:  global
        .offset:         96
        .size:           8
        .value_kind:     global_buffer
      - .offset:         104
        .size:           4
        .value_kind:     by_value
      - .offset:         108
        .size:           4
        .value_kind:     by_value
      - .offset:         112
        .size:           4
        .value_kind:     by_value
      - .offset:         116
        .size:           1
        .value_kind:     by_value
      - .offset:         117
        .size:           1
        .value_kind:     by_value
      - .offset:         118
        .size:           1
        .value_kind:     by_value
    .group_segment_fixed_size: 2304
    .kernarg_segment_align: 8
    .kernarg_segment_size: 120
    .language:       OpenCL C
    .language_version:
      - 2
      - 0
    .max_flat_workgroup_size: 256
    .name:           _ZN9rocsparseL29csrgeam_fill_multipass_kernelILj256ELj32ElidEEvllNS_24const_host_device_scalarIT3_EEPKT1_PKT2_PKS2_S3_S6_S9_SB_S6_PS7_PS2_21rocsparse_index_base_SE_SE_bbb
    .private_segment_fixed_size: 0
    .sgpr_count:     30
    .sgpr_spill_count: 0
    .symbol:         _ZN9rocsparseL29csrgeam_fill_multipass_kernelILj256ELj32ElidEEvllNS_24const_host_device_scalarIT3_EEPKT1_PKT2_PKS2_S3_S6_S9_SB_S6_PS7_PS2_21rocsparse_index_base_SE_SE_bbb.kd
    .uniform_work_group_size: 1
    .uses_dynamic_stack: false
    .vgpr_count:     41
    .vgpr_spill_count: 0
    .wavefront_size: 64
  - .agpr_count:     0
    .args:
      - .offset:         0
        .size:           8
        .value_kind:     by_value
      - .offset:         8
        .size:           8
        .value_kind:     by_value
      - .offset:         16
        .size:           8
        .value_kind:     by_value
      - .actual_access:  read_only
        .address_space:  global
        .offset:         24
        .size:           8
        .value_kind:     global_buffer
      - .actual_access:  read_only
        .address_space:  global
        .offset:         32
        .size:           8
        .value_kind:     global_buffer
      - .actual_access:  read_only
        .address_space:  global
        .offset:         40
        .size:           8
        .value_kind:     global_buffer
      - .offset:         48
        .size:           8
        .value_kind:     by_value
      - .actual_access:  read_only
        .address_space:  global
        .offset:         56
        .size:           8
        .value_kind:     global_buffer
      - .actual_access:  read_only
        .address_space:  global
        .offset:         64
        .size:           8
        .value_kind:     global_buffer
      - .actual_access:  read_only
        .address_space:  global
        .offset:         72
        .size:           8
        .value_kind:     global_buffer
      - .actual_access:  read_only
        .address_space:  global
        .offset:         80
        .size:           8
        .value_kind:     global_buffer
      - .actual_access:  write_only
        .address_space:  global
        .offset:         88
        .size:           8
        .value_kind:     global_buffer
      - .actual_access:  write_only
        .address_space:  global
        .offset:         96
        .size:           8
        .value_kind:     global_buffer
      - .offset:         104
        .size:           4
        .value_kind:     by_value
      - .offset:         108
        .size:           4
        .value_kind:     by_value
      - .offset:         112
        .size:           4
        .value_kind:     by_value
      - .offset:         116
        .size:           1
        .value_kind:     by_value
      - .offset:         117
        .size:           1
        .value_kind:     by_value
      - .offset:         118
        .size:           1
        .value_kind:     by_value
    .group_segment_fixed_size: 2304
    .kernarg_segment_align: 8
    .kernarg_segment_size: 120
    .language:       OpenCL C
    .language_version:
      - 2
      - 0
    .max_flat_workgroup_size: 256
    .name:           _ZN9rocsparseL29csrgeam_fill_multipass_kernelILj256ELj64ElidEEvllNS_24const_host_device_scalarIT3_EEPKT1_PKT2_PKS2_S3_S6_S9_SB_S6_PS7_PS2_21rocsparse_index_base_SE_SE_bbb
    .private_segment_fixed_size: 0
    .sgpr_count:     30
    .sgpr_spill_count: 0
    .symbol:         _ZN9rocsparseL29csrgeam_fill_multipass_kernelILj256ELj64ElidEEvllNS_24const_host_device_scalarIT3_EEPKT1_PKT2_PKS2_S3_S6_S9_SB_S6_PS7_PS2_21rocsparse_index_base_SE_SE_bbb.kd
    .uniform_work_group_size: 1
    .uses_dynamic_stack: false
    .vgpr_count:     43
    .vgpr_spill_count: 0
    .wavefront_size: 64
  - .agpr_count:     0
    .args:
      - .offset:         0
        .size:           8
        .value_kind:     by_value
      - .offset:         8
        .size:           8
        .value_kind:     by_value
      - .offset:         16
        .size:           8
        .value_kind:     by_value
      - .actual_access:  read_only
        .address_space:  global
        .offset:         24
        .size:           8
        .value_kind:     global_buffer
      - .actual_access:  read_only
        .address_space:  global
        .offset:         32
        .size:           8
        .value_kind:     global_buffer
      - .actual_access:  read_only
        .address_space:  global
        .offset:         40
        .size:           8
        .value_kind:     global_buffer
      - .offset:         48
        .size:           8
        .value_kind:     by_value
      - .actual_access:  read_only
        .address_space:  global
        .offset:         56
        .size:           8
        .value_kind:     global_buffer
      - .actual_access:  read_only
        .address_space:  global
        .offset:         64
        .size:           8
        .value_kind:     global_buffer
      - .actual_access:  read_only
        .address_space:  global
        .offset:         72
        .size:           8
        .value_kind:     global_buffer
      - .actual_access:  read_only
        .address_space:  global
        .offset:         80
        .size:           8
        .value_kind:     global_buffer
      - .actual_access:  write_only
        .address_space:  global
        .offset:         88
        .size:           8
        .value_kind:     global_buffer
      - .actual_access:  write_only
        .address_space:  global
        .offset:         96
        .size:           8
        .value_kind:     global_buffer
      - .offset:         104
        .size:           4
        .value_kind:     by_value
      - .offset:         108
        .size:           4
        .value_kind:     by_value
      - .offset:         112
        .size:           4
        .value_kind:     by_value
      - .offset:         116
        .size:           1
        .value_kind:     by_value
      - .offset:         117
        .size:           1
        .value_kind:     by_value
      - .offset:         118
        .size:           1
        .value_kind:     by_value
    .group_segment_fixed_size: 2304
    .kernarg_segment_align: 8
    .kernarg_segment_size: 120
    .language:       OpenCL C
    .language_version:
      - 2
      - 0
    .max_flat_workgroup_size: 256
    .name:           _ZN9rocsparseL29csrgeam_fill_multipass_kernelILj256ELj32ElldEEvllNS_24const_host_device_scalarIT3_EEPKT1_PKT2_PKS2_S3_S6_S9_SB_S6_PS7_PS2_21rocsparse_index_base_SE_SE_bbb
    .private_segment_fixed_size: 0
    .sgpr_count:     32
    .sgpr_spill_count: 0
    .symbol:         _ZN9rocsparseL29csrgeam_fill_multipass_kernelILj256ELj32ElldEEvllNS_24const_host_device_scalarIT3_EEPKT1_PKT2_PKS2_S3_S6_S9_SB_S6_PS7_PS2_21rocsparse_index_base_SE_SE_bbb.kd
    .uniform_work_group_size: 1
    .uses_dynamic_stack: false
    .vgpr_count:     44
    .vgpr_spill_count: 0
    .wavefront_size: 64
  - .agpr_count:     0
    .args:
      - .offset:         0
        .size:           8
        .value_kind:     by_value
      - .offset:         8
        .size:           8
        .value_kind:     by_value
      - .offset:         16
        .size:           8
        .value_kind:     by_value
      - .actual_access:  read_only
        .address_space:  global
        .offset:         24
        .size:           8
        .value_kind:     global_buffer
      - .actual_access:  read_only
        .address_space:  global
        .offset:         32
        .size:           8
        .value_kind:     global_buffer
      - .actual_access:  read_only
        .address_space:  global
        .offset:         40
        .size:           8
        .value_kind:     global_buffer
      - .offset:         48
        .size:           8
        .value_kind:     by_value
      - .actual_access:  read_only
        .address_space:  global
        .offset:         56
        .size:           8
        .value_kind:     global_buffer
      - .actual_access:  read_only
        .address_space:  global
        .offset:         64
        .size:           8
        .value_kind:     global_buffer
      - .actual_access:  read_only
        .address_space:  global
        .offset:         72
        .size:           8
        .value_kind:     global_buffer
      - .actual_access:  read_only
        .address_space:  global
        .offset:         80
        .size:           8
        .value_kind:     global_buffer
      - .actual_access:  write_only
        .address_space:  global
        .offset:         88
        .size:           8
        .value_kind:     global_buffer
      - .actual_access:  write_only
        .address_space:  global
        .offset:         96
        .size:           8
        .value_kind:     global_buffer
      - .offset:         104
        .size:           4
        .value_kind:     by_value
      - .offset:         108
        .size:           4
        .value_kind:     by_value
      - .offset:         112
        .size:           4
        .value_kind:     by_value
      - .offset:         116
        .size:           1
        .value_kind:     by_value
      - .offset:         117
        .size:           1
        .value_kind:     by_value
      - .offset:         118
        .size:           1
        .value_kind:     by_value
    .group_segment_fixed_size: 2304
    .kernarg_segment_align: 8
    .kernarg_segment_size: 120
    .language:       OpenCL C
    .language_version:
      - 2
      - 0
    .max_flat_workgroup_size: 256
    .name:           _ZN9rocsparseL29csrgeam_fill_multipass_kernelILj256ELj64ElldEEvllNS_24const_host_device_scalarIT3_EEPKT1_PKT2_PKS2_S3_S6_S9_SB_S6_PS7_PS2_21rocsparse_index_base_SE_SE_bbb
    .private_segment_fixed_size: 0
    .sgpr_count:     32
    .sgpr_spill_count: 0
    .symbol:         _ZN9rocsparseL29csrgeam_fill_multipass_kernelILj256ELj64ElldEEvllNS_24const_host_device_scalarIT3_EEPKT1_PKT2_PKS2_S3_S6_S9_SB_S6_PS7_PS2_21rocsparse_index_base_SE_SE_bbb.kd
    .uniform_work_group_size: 1
    .uses_dynamic_stack: false
    .vgpr_count:     46
    .vgpr_spill_count: 0
    .wavefront_size: 64
  - .agpr_count:     0
    .args:
      - .offset:         0
        .size:           8
        .value_kind:     by_value
      - .offset:         8
        .size:           8
        .value_kind:     by_value
      - .offset:         16
        .size:           8
        .value_kind:     by_value
      - .actual_access:  read_only
        .address_space:  global
        .offset:         24
        .size:           8
        .value_kind:     global_buffer
      - .actual_access:  read_only
        .address_space:  global
        .offset:         32
        .size:           8
        .value_kind:     global_buffer
      - .actual_access:  read_only
        .address_space:  global
        .offset:         40
        .size:           8
        .value_kind:     global_buffer
      - .offset:         48
        .size:           8
        .value_kind:     by_value
      - .actual_access:  read_only
        .address_space:  global
        .offset:         56
        .size:           8
        .value_kind:     global_buffer
      - .actual_access:  read_only
        .address_space:  global
        .offset:         64
        .size:           8
        .value_kind:     global_buffer
      - .actual_access:  read_only
        .address_space:  global
        .offset:         72
        .size:           8
        .value_kind:     global_buffer
      - .actual_access:  read_only
        .address_space:  global
        .offset:         80
        .size:           8
        .value_kind:     global_buffer
      - .actual_access:  write_only
        .address_space:  global
        .offset:         88
        .size:           8
        .value_kind:     global_buffer
      - .actual_access:  write_only
        .address_space:  global
        .offset:         96
        .size:           8
        .value_kind:     global_buffer
      - .offset:         104
        .size:           4
        .value_kind:     by_value
      - .offset:         108
        .size:           4
        .value_kind:     by_value
      - .offset:         112
        .size:           4
        .value_kind:     by_value
      - .offset:         116
        .size:           1
        .value_kind:     by_value
      - .offset:         117
        .size:           1
        .value_kind:     by_value
      - .offset:         118
        .size:           1
        .value_kind:     by_value
    .group_segment_fixed_size: 2304
    .kernarg_segment_align: 8
    .kernarg_segment_size: 120
    .language:       OpenCL C
    .language_version:
      - 2
      - 0
    .max_flat_workgroup_size: 256
    .name:           _ZN9rocsparseL29csrgeam_fill_multipass_kernelILj256ELj32Eii21rocsparse_complex_numIfEEEvllNS_24const_host_device_scalarIT3_EEPKT1_PKT2_PKS4_S5_S8_SB_SD_S8_PS9_PS4_21rocsparse_index_base_SG_SG_bbb
    .private_segment_fixed_size: 0
    .sgpr_count:     44
    .sgpr_spill_count: 0
    .symbol:         _ZN9rocsparseL29csrgeam_fill_multipass_kernelILj256ELj32Eii21rocsparse_complex_numIfEEEvllNS_24const_host_device_scalarIT3_EEPKT1_PKT2_PKS4_S5_S8_SB_SD_S8_PS9_PS4_21rocsparse_index_base_SG_SG_bbb.kd
    .uniform_work_group_size: 1
    .uses_dynamic_stack: false
    .vgpr_count:     32
    .vgpr_spill_count: 0
    .wavefront_size: 64
  - .agpr_count:     0
    .args:
      - .offset:         0
        .size:           8
        .value_kind:     by_value
      - .offset:         8
        .size:           8
        .value_kind:     by_value
      - .offset:         16
        .size:           8
        .value_kind:     by_value
      - .actual_access:  read_only
        .address_space:  global
        .offset:         24
        .size:           8
        .value_kind:     global_buffer
      - .actual_access:  read_only
        .address_space:  global
        .offset:         32
        .size:           8
        .value_kind:     global_buffer
      - .actual_access:  read_only
        .address_space:  global
        .offset:         40
        .size:           8
        .value_kind:     global_buffer
      - .offset:         48
        .size:           8
        .value_kind:     by_value
      - .actual_access:  read_only
        .address_space:  global
        .offset:         56
        .size:           8
        .value_kind:     global_buffer
      - .actual_access:  read_only
        .address_space:  global
        .offset:         64
        .size:           8
        .value_kind:     global_buffer
      - .actual_access:  read_only
        .address_space:  global
        .offset:         72
        .size:           8
        .value_kind:     global_buffer
      - .actual_access:  read_only
        .address_space:  global
        .offset:         80
        .size:           8
        .value_kind:     global_buffer
      - .actual_access:  write_only
        .address_space:  global
        .offset:         88
        .size:           8
        .value_kind:     global_buffer
      - .actual_access:  write_only
        .address_space:  global
        .offset:         96
        .size:           8
        .value_kind:     global_buffer
      - .offset:         104
        .size:           4
        .value_kind:     by_value
      - .offset:         108
        .size:           4
        .value_kind:     by_value
      - .offset:         112
        .size:           4
        .value_kind:     by_value
      - .offset:         116
        .size:           1
        .value_kind:     by_value
      - .offset:         117
        .size:           1
        .value_kind:     by_value
      - .offset:         118
        .size:           1
        .value_kind:     by_value
    .group_segment_fixed_size: 2304
    .kernarg_segment_align: 8
    .kernarg_segment_size: 120
    .language:       OpenCL C
    .language_version:
      - 2
      - 0
    .max_flat_workgroup_size: 256
    .name:           _ZN9rocsparseL29csrgeam_fill_multipass_kernelILj256ELj64Eii21rocsparse_complex_numIfEEEvllNS_24const_host_device_scalarIT3_EEPKT1_PKT2_PKS4_S5_S8_SB_SD_S8_PS9_PS4_21rocsparse_index_base_SG_SG_bbb
    .private_segment_fixed_size: 0
    .sgpr_count:     44
    .sgpr_spill_count: 0
    .symbol:         _ZN9rocsparseL29csrgeam_fill_multipass_kernelILj256ELj64Eii21rocsparse_complex_numIfEEEvllNS_24const_host_device_scalarIT3_EEPKT1_PKT2_PKS4_S5_S8_SB_SD_S8_PS9_PS4_21rocsparse_index_base_SG_SG_bbb.kd
    .uniform_work_group_size: 1
    .uses_dynamic_stack: false
    .vgpr_count:     32
    .vgpr_spill_count: 0
    .wavefront_size: 64
  - .agpr_count:     0
    .args:
      - .offset:         0
        .size:           8
        .value_kind:     by_value
      - .offset:         8
        .size:           8
        .value_kind:     by_value
      - .offset:         16
        .size:           8
        .value_kind:     by_value
      - .actual_access:  read_only
        .address_space:  global
        .offset:         24
        .size:           8
        .value_kind:     global_buffer
      - .actual_access:  read_only
        .address_space:  global
        .offset:         32
        .size:           8
        .value_kind:     global_buffer
      - .actual_access:  read_only
        .address_space:  global
        .offset:         40
        .size:           8
        .value_kind:     global_buffer
      - .offset:         48
        .size:           8
        .value_kind:     by_value
      - .actual_access:  read_only
        .address_space:  global
        .offset:         56
        .size:           8
        .value_kind:     global_buffer
      - .actual_access:  read_only
        .address_space:  global
        .offset:         64
        .size:           8
        .value_kind:     global_buffer
      - .actual_access:  read_only
        .address_space:  global
        .offset:         72
        .size:           8
        .value_kind:     global_buffer
      - .actual_access:  read_only
        .address_space:  global
        .offset:         80
        .size:           8
        .value_kind:     global_buffer
      - .actual_access:  write_only
        .address_space:  global
        .offset:         88
        .size:           8
        .value_kind:     global_buffer
      - .actual_access:  write_only
        .address_space:  global
        .offset:         96
        .size:           8
        .value_kind:     global_buffer
      - .offset:         104
        .size:           4
        .value_kind:     by_value
      - .offset:         108
        .size:           4
        .value_kind:     by_value
      - .offset:         112
        .size:           4
        .value_kind:     by_value
      - .offset:         116
        .size:           1
        .value_kind:     by_value
      - .offset:         117
        .size:           1
        .value_kind:     by_value
      - .offset:         118
        .size:           1
        .value_kind:     by_value
    .group_segment_fixed_size: 2304
    .kernarg_segment_align: 8
    .kernarg_segment_size: 120
    .language:       OpenCL C
    .language_version:
      - 2
      - 0
    .max_flat_workgroup_size: 256
    .name:           _ZN9rocsparseL29csrgeam_fill_multipass_kernelILj256ELj32Eli21rocsparse_complex_numIfEEEvllNS_24const_host_device_scalarIT3_EEPKT1_PKT2_PKS4_S5_S8_SB_SD_S8_PS9_PS4_21rocsparse_index_base_SG_SG_bbb
    .private_segment_fixed_size: 0
    .sgpr_count:     44
    .sgpr_spill_count: 0
    .symbol:         _ZN9rocsparseL29csrgeam_fill_multipass_kernelILj256ELj32Eli21rocsparse_complex_numIfEEEvllNS_24const_host_device_scalarIT3_EEPKT1_PKT2_PKS4_S5_S8_SB_SD_S8_PS9_PS4_21rocsparse_index_base_SG_SG_bbb.kd
    .uniform_work_group_size: 1
    .uses_dynamic_stack: false
    .vgpr_count:     37
    .vgpr_spill_count: 0
    .wavefront_size: 64
  - .agpr_count:     0
    .args:
      - .offset:         0
        .size:           8
        .value_kind:     by_value
      - .offset:         8
        .size:           8
        .value_kind:     by_value
      - .offset:         16
        .size:           8
        .value_kind:     by_value
      - .actual_access:  read_only
        .address_space:  global
        .offset:         24
        .size:           8
        .value_kind:     global_buffer
      - .actual_access:  read_only
        .address_space:  global
        .offset:         32
        .size:           8
        .value_kind:     global_buffer
      - .actual_access:  read_only
        .address_space:  global
        .offset:         40
        .size:           8
        .value_kind:     global_buffer
      - .offset:         48
        .size:           8
        .value_kind:     by_value
      - .actual_access:  read_only
        .address_space:  global
        .offset:         56
        .size:           8
        .value_kind:     global_buffer
      - .actual_access:  read_only
        .address_space:  global
        .offset:         64
        .size:           8
        .value_kind:     global_buffer
      - .actual_access:  read_only
        .address_space:  global
        .offset:         72
        .size:           8
        .value_kind:     global_buffer
      - .actual_access:  read_only
        .address_space:  global
        .offset:         80
        .size:           8
        .value_kind:     global_buffer
      - .actual_access:  write_only
        .address_space:  global
        .offset:         88
        .size:           8
        .value_kind:     global_buffer
      - .actual_access:  write_only
        .address_space:  global
        .offset:         96
        .size:           8
        .value_kind:     global_buffer
      - .offset:         104
        .size:           4
        .value_kind:     by_value
      - .offset:         108
        .size:           4
        .value_kind:     by_value
      - .offset:         112
        .size:           4
        .value_kind:     by_value
      - .offset:         116
        .size:           1
        .value_kind:     by_value
      - .offset:         117
        .size:           1
        .value_kind:     by_value
      - .offset:         118
        .size:           1
        .value_kind:     by_value
    .group_segment_fixed_size: 2304
    .kernarg_segment_align: 8
    .kernarg_segment_size: 120
    .language:       OpenCL C
    .language_version:
      - 2
      - 0
    .max_flat_workgroup_size: 256
    .name:           _ZN9rocsparseL29csrgeam_fill_multipass_kernelILj256ELj64Eli21rocsparse_complex_numIfEEEvllNS_24const_host_device_scalarIT3_EEPKT1_PKT2_PKS4_S5_S8_SB_SD_S8_PS9_PS4_21rocsparse_index_base_SG_SG_bbb
    .private_segment_fixed_size: 0
    .sgpr_count:     44
    .sgpr_spill_count: 0
    .symbol:         _ZN9rocsparseL29csrgeam_fill_multipass_kernelILj256ELj64Eli21rocsparse_complex_numIfEEEvllNS_24const_host_device_scalarIT3_EEPKT1_PKT2_PKS4_S5_S8_SB_SD_S8_PS9_PS4_21rocsparse_index_base_SG_SG_bbb.kd
    .uniform_work_group_size: 1
    .uses_dynamic_stack: false
    .vgpr_count:     39
    .vgpr_spill_count: 0
    .wavefront_size: 64
  - .agpr_count:     0
    .args:
      - .offset:         0
        .size:           8
        .value_kind:     by_value
      - .offset:         8
        .size:           8
        .value_kind:     by_value
      - .offset:         16
        .size:           8
        .value_kind:     by_value
      - .actual_access:  read_only
        .address_space:  global
        .offset:         24
        .size:           8
        .value_kind:     global_buffer
      - .actual_access:  read_only
        .address_space:  global
        .offset:         32
        .size:           8
        .value_kind:     global_buffer
      - .actual_access:  read_only
        .address_space:  global
        .offset:         40
        .size:           8
        .value_kind:     global_buffer
      - .offset:         48
        .size:           8
        .value_kind:     by_value
      - .actual_access:  read_only
        .address_space:  global
        .offset:         56
        .size:           8
        .value_kind:     global_buffer
      - .actual_access:  read_only
        .address_space:  global
        .offset:         64
        .size:           8
        .value_kind:     global_buffer
      - .actual_access:  read_only
        .address_space:  global
        .offset:         72
        .size:           8
        .value_kind:     global_buffer
      - .actual_access:  read_only
        .address_space:  global
        .offset:         80
        .size:           8
        .value_kind:     global_buffer
      - .actual_access:  write_only
        .address_space:  global
        .offset:         88
        .size:           8
        .value_kind:     global_buffer
      - .actual_access:  write_only
        .address_space:  global
        .offset:         96
        .size:           8
        .value_kind:     global_buffer
      - .offset:         104
        .size:           4
        .value_kind:     by_value
      - .offset:         108
        .size:           4
        .value_kind:     by_value
      - .offset:         112
        .size:           4
        .value_kind:     by_value
      - .offset:         116
        .size:           1
        .value_kind:     by_value
      - .offset:         117
        .size:           1
        .value_kind:     by_value
      - .offset:         118
        .size:           1
        .value_kind:     by_value
    .group_segment_fixed_size: 2304
    .kernarg_segment_align: 8
    .kernarg_segment_size: 120
    .language:       OpenCL C
    .language_version:
      - 2
      - 0
    .max_flat_workgroup_size: 256
    .name:           _ZN9rocsparseL29csrgeam_fill_multipass_kernelILj256ELj32Ell21rocsparse_complex_numIfEEEvllNS_24const_host_device_scalarIT3_EEPKT1_PKT2_PKS4_S5_S8_SB_SD_S8_PS9_PS4_21rocsparse_index_base_SG_SG_bbb
    .private_segment_fixed_size: 0
    .sgpr_count:     44
    .sgpr_spill_count: 0
    .symbol:         _ZN9rocsparseL29csrgeam_fill_multipass_kernelILj256ELj32Ell21rocsparse_complex_numIfEEEvllNS_24const_host_device_scalarIT3_EEPKT1_PKT2_PKS4_S5_S8_SB_SD_S8_PS9_PS4_21rocsparse_index_base_SG_SG_bbb.kd
    .uniform_work_group_size: 1
    .uses_dynamic_stack: false
    .vgpr_count:     40
    .vgpr_spill_count: 0
    .wavefront_size: 64
  - .agpr_count:     0
    .args:
      - .offset:         0
        .size:           8
        .value_kind:     by_value
      - .offset:         8
        .size:           8
        .value_kind:     by_value
      - .offset:         16
        .size:           8
        .value_kind:     by_value
      - .actual_access:  read_only
        .address_space:  global
        .offset:         24
        .size:           8
        .value_kind:     global_buffer
      - .actual_access:  read_only
        .address_space:  global
        .offset:         32
        .size:           8
        .value_kind:     global_buffer
      - .actual_access:  read_only
        .address_space:  global
        .offset:         40
        .size:           8
        .value_kind:     global_buffer
      - .offset:         48
        .size:           8
        .value_kind:     by_value
      - .actual_access:  read_only
        .address_space:  global
        .offset:         56
        .size:           8
        .value_kind:     global_buffer
      - .actual_access:  read_only
        .address_space:  global
        .offset:         64
        .size:           8
        .value_kind:     global_buffer
      - .actual_access:  read_only
        .address_space:  global
        .offset:         72
        .size:           8
        .value_kind:     global_buffer
      - .actual_access:  read_only
        .address_space:  global
        .offset:         80
        .size:           8
        .value_kind:     global_buffer
      - .actual_access:  write_only
        .address_space:  global
        .offset:         88
        .size:           8
        .value_kind:     global_buffer
      - .actual_access:  write_only
        .address_space:  global
        .offset:         96
        .size:           8
        .value_kind:     global_buffer
      - .offset:         104
        .size:           4
        .value_kind:     by_value
      - .offset:         108
        .size:           4
        .value_kind:     by_value
      - .offset:         112
        .size:           4
        .value_kind:     by_value
      - .offset:         116
        .size:           1
        .value_kind:     by_value
      - .offset:         117
        .size:           1
        .value_kind:     by_value
      - .offset:         118
        .size:           1
        .value_kind:     by_value
    .group_segment_fixed_size: 2304
    .kernarg_segment_align: 8
    .kernarg_segment_size: 120
    .language:       OpenCL C
    .language_version:
      - 2
      - 0
    .max_flat_workgroup_size: 256
    .name:           _ZN9rocsparseL29csrgeam_fill_multipass_kernelILj256ELj64Ell21rocsparse_complex_numIfEEEvllNS_24const_host_device_scalarIT3_EEPKT1_PKT2_PKS4_S5_S8_SB_SD_S8_PS9_PS4_21rocsparse_index_base_SG_SG_bbb
    .private_segment_fixed_size: 0
    .sgpr_count:     44
    .sgpr_spill_count: 0
    .symbol:         _ZN9rocsparseL29csrgeam_fill_multipass_kernelILj256ELj64Ell21rocsparse_complex_numIfEEEvllNS_24const_host_device_scalarIT3_EEPKT1_PKT2_PKS4_S5_S8_SB_SD_S8_PS9_PS4_21rocsparse_index_base_SG_SG_bbb.kd
    .uniform_work_group_size: 1
    .uses_dynamic_stack: false
    .vgpr_count:     42
    .vgpr_spill_count: 0
    .wavefront_size: 64
  - .agpr_count:     0
    .args:
      - .offset:         0
        .size:           8
        .value_kind:     by_value
      - .offset:         8
        .size:           8
        .value_kind:     by_value
      - .offset:         16
        .size:           16
        .value_kind:     by_value
      - .actual_access:  read_only
        .address_space:  global
        .offset:         32
        .size:           8
        .value_kind:     global_buffer
      - .actual_access:  read_only
        .address_space:  global
        .offset:         40
        .size:           8
        .value_kind:     global_buffer
      - .actual_access:  read_only
        .address_space:  global
        .offset:         48
        .size:           8
        .value_kind:     global_buffer
      - .offset:         56
        .size:           16
        .value_kind:     by_value
      - .actual_access:  read_only
        .address_space:  global
        .offset:         72
        .size:           8
        .value_kind:     global_buffer
      - .actual_access:  read_only
        .address_space:  global
        .offset:         80
        .size:           8
        .value_kind:     global_buffer
      - .actual_access:  read_only
        .address_space:  global
        .offset:         88
        .size:           8
        .value_kind:     global_buffer
      - .actual_access:  read_only
        .address_space:  global
        .offset:         96
        .size:           8
        .value_kind:     global_buffer
      - .actual_access:  write_only
        .address_space:  global
        .offset:         104
        .size:           8
        .value_kind:     global_buffer
      - .actual_access:  write_only
        .address_space:  global
        .offset:         112
        .size:           8
        .value_kind:     global_buffer
      - .offset:         120
        .size:           4
        .value_kind:     by_value
      - .offset:         124
        .size:           4
        .value_kind:     by_value
      - .offset:         128
        .size:           4
        .value_kind:     by_value
      - .offset:         132
        .size:           1
        .value_kind:     by_value
      - .offset:         133
        .size:           1
        .value_kind:     by_value
      - .offset:         134
        .size:           1
        .value_kind:     by_value
    .group_segment_fixed_size: 6400
    .kernarg_segment_align: 8
    .kernarg_segment_size: 136
    .language:       OpenCL C
    .language_version:
      - 2
      - 0
    .max_flat_workgroup_size: 256
    .name:           _ZN9rocsparseL29csrgeam_fill_multipass_kernelILj256ELj32Eii21rocsparse_complex_numIdEEEvllNS_24const_host_device_scalarIT3_EEPKT1_PKT2_PKS4_S5_S8_SB_SD_S8_PS9_PS4_21rocsparse_index_base_SG_SG_bbb
    .private_segment_fixed_size: 16
    .sgpr_count:     38
    .sgpr_spill_count: 0
    .symbol:         _ZN9rocsparseL29csrgeam_fill_multipass_kernelILj256ELj32Eii21rocsparse_complex_numIdEEEvllNS_24const_host_device_scalarIT3_EEPKT1_PKT2_PKS4_S5_S8_SB_SD_S8_PS9_PS4_21rocsparse_index_base_SG_SG_bbb.kd
    .uniform_work_group_size: 1
    .uses_dynamic_stack: false
    .vgpr_count:     44
    .vgpr_spill_count: 0
    .wavefront_size: 64
  - .agpr_count:     0
    .args:
      - .offset:         0
        .size:           8
        .value_kind:     by_value
      - .offset:         8
        .size:           8
        .value_kind:     by_value
      - .offset:         16
        .size:           16
        .value_kind:     by_value
      - .actual_access:  read_only
        .address_space:  global
        .offset:         32
        .size:           8
        .value_kind:     global_buffer
      - .actual_access:  read_only
        .address_space:  global
        .offset:         40
        .size:           8
        .value_kind:     global_buffer
      - .actual_access:  read_only
        .address_space:  global
        .offset:         48
        .size:           8
        .value_kind:     global_buffer
      - .offset:         56
        .size:           16
        .value_kind:     by_value
      - .actual_access:  read_only
        .address_space:  global
        .offset:         72
        .size:           8
        .value_kind:     global_buffer
      - .actual_access:  read_only
        .address_space:  global
        .offset:         80
        .size:           8
        .value_kind:     global_buffer
      - .actual_access:  read_only
        .address_space:  global
        .offset:         88
        .size:           8
        .value_kind:     global_buffer
      - .actual_access:  read_only
        .address_space:  global
        .offset:         96
        .size:           8
        .value_kind:     global_buffer
      - .actual_access:  write_only
        .address_space:  global
        .offset:         104
        .size:           8
        .value_kind:     global_buffer
      - .actual_access:  write_only
        .address_space:  global
        .offset:         112
        .size:           8
        .value_kind:     global_buffer
      - .offset:         120
        .size:           4
        .value_kind:     by_value
      - .offset:         124
        .size:           4
        .value_kind:     by_value
      - .offset:         128
        .size:           4
        .value_kind:     by_value
      - .offset:         132
        .size:           1
        .value_kind:     by_value
      - .offset:         133
        .size:           1
        .value_kind:     by_value
      - .offset:         134
        .size:           1
        .value_kind:     by_value
    .group_segment_fixed_size: 6400
    .kernarg_segment_align: 8
    .kernarg_segment_size: 136
    .language:       OpenCL C
    .language_version:
      - 2
      - 0
    .max_flat_workgroup_size: 256
    .name:           _ZN9rocsparseL29csrgeam_fill_multipass_kernelILj256ELj64Eii21rocsparse_complex_numIdEEEvllNS_24const_host_device_scalarIT3_EEPKT1_PKT2_PKS4_S5_S8_SB_SD_S8_PS9_PS4_21rocsparse_index_base_SG_SG_bbb
    .private_segment_fixed_size: 16
    .sgpr_count:     38
    .sgpr_spill_count: 0
    .symbol:         _ZN9rocsparseL29csrgeam_fill_multipass_kernelILj256ELj64Eii21rocsparse_complex_numIdEEEvllNS_24const_host_device_scalarIT3_EEPKT1_PKT2_PKS4_S5_S8_SB_SD_S8_PS9_PS4_21rocsparse_index_base_SG_SG_bbb.kd
    .uniform_work_group_size: 1
    .uses_dynamic_stack: false
    .vgpr_count:     46
    .vgpr_spill_count: 0
    .wavefront_size: 64
  - .agpr_count:     0
    .args:
      - .offset:         0
        .size:           8
        .value_kind:     by_value
      - .offset:         8
        .size:           8
        .value_kind:     by_value
      - .offset:         16
        .size:           16
        .value_kind:     by_value
      - .actual_access:  read_only
        .address_space:  global
        .offset:         32
        .size:           8
        .value_kind:     global_buffer
      - .actual_access:  read_only
        .address_space:  global
        .offset:         40
        .size:           8
        .value_kind:     global_buffer
      - .actual_access:  read_only
        .address_space:  global
        .offset:         48
        .size:           8
        .value_kind:     global_buffer
      - .offset:         56
        .size:           16
        .value_kind:     by_value
      - .actual_access:  read_only
        .address_space:  global
        .offset:         72
        .size:           8
        .value_kind:     global_buffer
      - .actual_access:  read_only
        .address_space:  global
        .offset:         80
        .size:           8
        .value_kind:     global_buffer
      - .actual_access:  read_only
        .address_space:  global
        .offset:         88
        .size:           8
        .value_kind:     global_buffer
      - .actual_access:  read_only
        .address_space:  global
        .offset:         96
        .size:           8
        .value_kind:     global_buffer
      - .actual_access:  write_only
        .address_space:  global
        .offset:         104
        .size:           8
        .value_kind:     global_buffer
      - .actual_access:  write_only
        .address_space:  global
        .offset:         112
        .size:           8
        .value_kind:     global_buffer
      - .offset:         120
        .size:           4
        .value_kind:     by_value
      - .offset:         124
        .size:           4
        .value_kind:     by_value
      - .offset:         128
        .size:           4
        .value_kind:     by_value
      - .offset:         132
        .size:           1
        .value_kind:     by_value
      - .offset:         133
        .size:           1
        .value_kind:     by_value
      - .offset:         134
        .size:           1
        .value_kind:     by_value
    .group_segment_fixed_size: 6400
    .kernarg_segment_align: 8
    .kernarg_segment_size: 136
    .language:       OpenCL C
    .language_version:
      - 2
      - 0
    .max_flat_workgroup_size: 256
    .name:           _ZN9rocsparseL29csrgeam_fill_multipass_kernelILj256ELj32Eli21rocsparse_complex_numIdEEEvllNS_24const_host_device_scalarIT3_EEPKT1_PKT2_PKS4_S5_S8_SB_SD_S8_PS9_PS4_21rocsparse_index_base_SG_SG_bbb
    .private_segment_fixed_size: 16
    .sgpr_count:     38
    .sgpr_spill_count: 0
    .symbol:         _ZN9rocsparseL29csrgeam_fill_multipass_kernelILj256ELj32Eli21rocsparse_complex_numIdEEEvllNS_24const_host_device_scalarIT3_EEPKT1_PKT2_PKS4_S5_S8_SB_SD_S8_PS9_PS4_21rocsparse_index_base_SG_SG_bbb.kd
    .uniform_work_group_size: 1
    .uses_dynamic_stack: false
    .vgpr_count:     51
    .vgpr_spill_count: 0
    .wavefront_size: 64
  - .agpr_count:     0
    .args:
      - .offset:         0
        .size:           8
        .value_kind:     by_value
      - .offset:         8
        .size:           8
        .value_kind:     by_value
      - .offset:         16
        .size:           16
        .value_kind:     by_value
      - .actual_access:  read_only
        .address_space:  global
        .offset:         32
        .size:           8
        .value_kind:     global_buffer
      - .actual_access:  read_only
        .address_space:  global
        .offset:         40
        .size:           8
        .value_kind:     global_buffer
      - .actual_access:  read_only
        .address_space:  global
        .offset:         48
        .size:           8
        .value_kind:     global_buffer
      - .offset:         56
        .size:           16
        .value_kind:     by_value
      - .actual_access:  read_only
        .address_space:  global
        .offset:         72
        .size:           8
        .value_kind:     global_buffer
      - .actual_access:  read_only
        .address_space:  global
        .offset:         80
        .size:           8
        .value_kind:     global_buffer
      - .actual_access:  read_only
        .address_space:  global
        .offset:         88
        .size:           8
        .value_kind:     global_buffer
      - .actual_access:  read_only
        .address_space:  global
        .offset:         96
        .size:           8
        .value_kind:     global_buffer
      - .actual_access:  write_only
        .address_space:  global
        .offset:         104
        .size:           8
        .value_kind:     global_buffer
      - .actual_access:  write_only
        .address_space:  global
        .offset:         112
        .size:           8
        .value_kind:     global_buffer
      - .offset:         120
        .size:           4
        .value_kind:     by_value
      - .offset:         124
        .size:           4
        .value_kind:     by_value
      - .offset:         128
        .size:           4
        .value_kind:     by_value
      - .offset:         132
        .size:           1
        .value_kind:     by_value
      - .offset:         133
        .size:           1
        .value_kind:     by_value
      - .offset:         134
        .size:           1
        .value_kind:     by_value
    .group_segment_fixed_size: 6400
    .kernarg_segment_align: 8
    .kernarg_segment_size: 136
    .language:       OpenCL C
    .language_version:
      - 2
      - 0
    .max_flat_workgroup_size: 256
    .name:           _ZN9rocsparseL29csrgeam_fill_multipass_kernelILj256ELj64Eli21rocsparse_complex_numIdEEEvllNS_24const_host_device_scalarIT3_EEPKT1_PKT2_PKS4_S5_S8_SB_SD_S8_PS9_PS4_21rocsparse_index_base_SG_SG_bbb
    .private_segment_fixed_size: 16
    .sgpr_count:     38
    .sgpr_spill_count: 0
    .symbol:         _ZN9rocsparseL29csrgeam_fill_multipass_kernelILj256ELj64Eli21rocsparse_complex_numIdEEEvllNS_24const_host_device_scalarIT3_EEPKT1_PKT2_PKS4_S5_S8_SB_SD_S8_PS9_PS4_21rocsparse_index_base_SG_SG_bbb.kd
    .uniform_work_group_size: 1
    .uses_dynamic_stack: false
    .vgpr_count:     53
    .vgpr_spill_count: 0
    .wavefront_size: 64
  - .agpr_count:     0
    .args:
      - .offset:         0
        .size:           8
        .value_kind:     by_value
      - .offset:         8
        .size:           8
        .value_kind:     by_value
      - .offset:         16
        .size:           16
        .value_kind:     by_value
      - .actual_access:  read_only
        .address_space:  global
        .offset:         32
        .size:           8
        .value_kind:     global_buffer
      - .actual_access:  read_only
        .address_space:  global
        .offset:         40
        .size:           8
        .value_kind:     global_buffer
      - .actual_access:  read_only
        .address_space:  global
        .offset:         48
        .size:           8
        .value_kind:     global_buffer
      - .offset:         56
        .size:           16
        .value_kind:     by_value
      - .actual_access:  read_only
        .address_space:  global
        .offset:         72
        .size:           8
        .value_kind:     global_buffer
      - .actual_access:  read_only
        .address_space:  global
        .offset:         80
        .size:           8
        .value_kind:     global_buffer
      - .actual_access:  read_only
        .address_space:  global
        .offset:         88
        .size:           8
        .value_kind:     global_buffer
      - .actual_access:  read_only
        .address_space:  global
        .offset:         96
        .size:           8
        .value_kind:     global_buffer
      - .actual_access:  write_only
        .address_space:  global
        .offset:         104
        .size:           8
        .value_kind:     global_buffer
      - .actual_access:  write_only
        .address_space:  global
        .offset:         112
        .size:           8
        .value_kind:     global_buffer
      - .offset:         120
        .size:           4
        .value_kind:     by_value
      - .offset:         124
        .size:           4
        .value_kind:     by_value
      - .offset:         128
        .size:           4
        .value_kind:     by_value
      - .offset:         132
        .size:           1
        .value_kind:     by_value
      - .offset:         133
        .size:           1
        .value_kind:     by_value
      - .offset:         134
        .size:           1
        .value_kind:     by_value
    .group_segment_fixed_size: 6400
    .kernarg_segment_align: 8
    .kernarg_segment_size: 136
    .language:       OpenCL C
    .language_version:
      - 2
      - 0
    .max_flat_workgroup_size: 256
    .name:           _ZN9rocsparseL29csrgeam_fill_multipass_kernelILj256ELj32Ell21rocsparse_complex_numIdEEEvllNS_24const_host_device_scalarIT3_EEPKT1_PKT2_PKS4_S5_S8_SB_SD_S8_PS9_PS4_21rocsparse_index_base_SG_SG_bbb
    .private_segment_fixed_size: 16
    .sgpr_count:     38
    .sgpr_spill_count: 0
    .symbol:         _ZN9rocsparseL29csrgeam_fill_multipass_kernelILj256ELj32Ell21rocsparse_complex_numIdEEEvllNS_24const_host_device_scalarIT3_EEPKT1_PKT2_PKS4_S5_S8_SB_SD_S8_PS9_PS4_21rocsparse_index_base_SG_SG_bbb.kd
    .uniform_work_group_size: 1
    .uses_dynamic_stack: false
    .vgpr_count:     56
    .vgpr_spill_count: 0
    .wavefront_size: 64
  - .agpr_count:     0
    .args:
      - .offset:         0
        .size:           8
        .value_kind:     by_value
      - .offset:         8
        .size:           8
        .value_kind:     by_value
      - .offset:         16
        .size:           16
        .value_kind:     by_value
      - .actual_access:  read_only
        .address_space:  global
        .offset:         32
        .size:           8
        .value_kind:     global_buffer
      - .actual_access:  read_only
        .address_space:  global
        .offset:         40
        .size:           8
        .value_kind:     global_buffer
      - .actual_access:  read_only
        .address_space:  global
        .offset:         48
        .size:           8
        .value_kind:     global_buffer
      - .offset:         56
        .size:           16
        .value_kind:     by_value
      - .actual_access:  read_only
        .address_space:  global
        .offset:         72
        .size:           8
        .value_kind:     global_buffer
      - .actual_access:  read_only
        .address_space:  global
        .offset:         80
        .size:           8
        .value_kind:     global_buffer
      - .actual_access:  read_only
        .address_space:  global
        .offset:         88
        .size:           8
        .value_kind:     global_buffer
      - .actual_access:  read_only
        .address_space:  global
        .offset:         96
        .size:           8
        .value_kind:     global_buffer
      - .actual_access:  write_only
        .address_space:  global
        .offset:         104
        .size:           8
        .value_kind:     global_buffer
      - .actual_access:  write_only
        .address_space:  global
        .offset:         112
        .size:           8
        .value_kind:     global_buffer
      - .offset:         120
        .size:           4
        .value_kind:     by_value
      - .offset:         124
        .size:           4
        .value_kind:     by_value
      - .offset:         128
        .size:           4
        .value_kind:     by_value
      - .offset:         132
        .size:           1
        .value_kind:     by_value
      - .offset:         133
        .size:           1
        .value_kind:     by_value
      - .offset:         134
        .size:           1
        .value_kind:     by_value
    .group_segment_fixed_size: 6400
    .kernarg_segment_align: 8
    .kernarg_segment_size: 136
    .language:       OpenCL C
    .language_version:
      - 2
      - 0
    .max_flat_workgroup_size: 256
    .name:           _ZN9rocsparseL29csrgeam_fill_multipass_kernelILj256ELj64Ell21rocsparse_complex_numIdEEEvllNS_24const_host_device_scalarIT3_EEPKT1_PKT2_PKS4_S5_S8_SB_SD_S8_PS9_PS4_21rocsparse_index_base_SG_SG_bbb
    .private_segment_fixed_size: 16
    .sgpr_count:     38
    .sgpr_spill_count: 0
    .symbol:         _ZN9rocsparseL29csrgeam_fill_multipass_kernelILj256ELj64Ell21rocsparse_complex_numIdEEEvllNS_24const_host_device_scalarIT3_EEPKT1_PKT2_PKS4_S5_S8_SB_SD_S8_PS9_PS4_21rocsparse_index_base_SG_SG_bbb.kd
    .uniform_work_group_size: 1
    .uses_dynamic_stack: false
    .vgpr_count:     58
    .vgpr_spill_count: 0
    .wavefront_size: 64
amdhsa.target:   amdgcn-amd-amdhsa--gfx90a
amdhsa.version:
  - 1
  - 2
...

	.end_amdgpu_metadata
